;; amdgpu-corpus repo=ROCm/composable_kernel kind=compiled arch=gfx950 opt=O3
	.amdgcn_target "amdgcn-amd-amdhsa--gfx950"
	.amdhsa_code_object_version 6
	.section	.text._ZN2ckL12flush_icacheEv,"axG",@progbits,_ZN2ckL12flush_icacheEv,comdat
	.globl	_ZN2ckL12flush_icacheEv         ; -- Begin function _ZN2ckL12flush_icacheEv
	.p2align	8
	.type	_ZN2ckL12flush_icacheEv,@function
_ZN2ckL12flush_icacheEv:                ; @_ZN2ckL12flush_icacheEv
; %bb.0:
	;;#ASMSTART
	s_icache_inv 
	s_nop 0 
	s_nop 0 
	;; [unrolled: 1-line block ×16, first 2 shown]
	
	;;#ASMEND
	s_endpgm
	.section	.rodata,"a",@progbits
	.p2align	6, 0x0
	.amdhsa_kernel _ZN2ckL12flush_icacheEv
		.amdhsa_group_segment_fixed_size 0
		.amdhsa_private_segment_fixed_size 0
		.amdhsa_kernarg_size 0
		.amdhsa_user_sgpr_count 0
		.amdhsa_user_sgpr_dispatch_ptr 0
		.amdhsa_user_sgpr_queue_ptr 0
		.amdhsa_user_sgpr_kernarg_segment_ptr 0
		.amdhsa_user_sgpr_dispatch_id 0
		.amdhsa_user_sgpr_kernarg_preload_length 0
		.amdhsa_user_sgpr_kernarg_preload_offset 0
		.amdhsa_user_sgpr_private_segment_size 0
		.amdhsa_uses_dynamic_stack 0
		.amdhsa_enable_private_segment 0
		.amdhsa_system_sgpr_workgroup_id_x 1
		.amdhsa_system_sgpr_workgroup_id_y 0
		.amdhsa_system_sgpr_workgroup_id_z 0
		.amdhsa_system_sgpr_workgroup_info 0
		.amdhsa_system_vgpr_workitem_id 0
		.amdhsa_next_free_vgpr 1
		.amdhsa_next_free_sgpr 0
		.amdhsa_accum_offset 4
		.amdhsa_reserve_vcc 0
		.amdhsa_float_round_mode_32 0
		.amdhsa_float_round_mode_16_64 0
		.amdhsa_float_denorm_mode_32 3
		.amdhsa_float_denorm_mode_16_64 3
		.amdhsa_dx10_clamp 1
		.amdhsa_ieee_mode 1
		.amdhsa_fp16_overflow 0
		.amdhsa_tg_split 0
		.amdhsa_exception_fp_ieee_invalid_op 0
		.amdhsa_exception_fp_denorm_src 0
		.amdhsa_exception_fp_ieee_div_zero 0
		.amdhsa_exception_fp_ieee_overflow 0
		.amdhsa_exception_fp_ieee_underflow 0
		.amdhsa_exception_fp_ieee_inexact 0
		.amdhsa_exception_int_div_zero 0
	.end_amdhsa_kernel
	.section	.text._ZN2ckL12flush_icacheEv,"axG",@progbits,_ZN2ckL12flush_icacheEv,comdat
.Lfunc_end0:
	.size	_ZN2ckL12flush_icacheEv, .Lfunc_end0-_ZN2ckL12flush_icacheEv
                                        ; -- End function
	.set _ZN2ckL12flush_icacheEv.num_vgpr, 0
	.set _ZN2ckL12flush_icacheEv.num_agpr, 0
	.set _ZN2ckL12flush_icacheEv.numbered_sgpr, 0
	.set _ZN2ckL12flush_icacheEv.num_named_barrier, 0
	.set _ZN2ckL12flush_icacheEv.private_seg_size, 0
	.set _ZN2ckL12flush_icacheEv.uses_vcc, 0
	.set _ZN2ckL12flush_icacheEv.uses_flat_scratch, 0
	.set _ZN2ckL12flush_icacheEv.has_dyn_sized_stack, 0
	.set _ZN2ckL12flush_icacheEv.has_recursion, 0
	.set _ZN2ckL12flush_icacheEv.has_indirect_call, 0
	.section	.AMDGPU.csdata,"",@progbits
; Kernel info:
; codeLenInByte = 276
; TotalNumSgprs: 6
; NumVgprs: 0
; NumAgprs: 0
; TotalNumVgprs: 0
; ScratchSize: 0
; MemoryBound: 0
; FloatMode: 240
; IeeeMode: 1
; LDSByteSize: 0 bytes/workgroup (compile time only)
; SGPRBlocks: 0
; VGPRBlocks: 0
; NumSGPRsForWavesPerEU: 6
; NumVGPRsForWavesPerEU: 1
; AccumOffset: 4
; Occupancy: 8
; WaveLimiterHint : 0
; COMPUTE_PGM_RSRC2:SCRATCH_EN: 0
; COMPUTE_PGM_RSRC2:USER_SGPR: 0
; COMPUTE_PGM_RSRC2:TRAP_HANDLER: 0
; COMPUTE_PGM_RSRC2:TGID_X_EN: 1
; COMPUTE_PGM_RSRC2:TGID_Y_EN: 0
; COMPUTE_PGM_RSRC2:TGID_Z_EN: 0
; COMPUTE_PGM_RSRC2:TIDIG_COMP_CNT: 0
; COMPUTE_PGM_RSRC3_GFX90A:ACCUM_OFFSET: 0
; COMPUTE_PGM_RSRC3_GFX90A:TG_SPLIT: 0
	.section	.text._ZN2ck27kernel_gemm_xdl_cshuffle_v3INS_28GridwiseGemm_xdl_cshuffle_v3INS_13tensor_layout4gemm8RowMajorENS3_11ColumnMajorES4_fffffNS_16tensor_operation12element_wise11PassThroughES8_S8_LNS6_6device18GemmSpecializationE0ELi128ELi64ELi64ELi64ELi4ELi4ELi16ELi16ELi2ELi4ENS_8SequenceIJLi4ELi32ELi1EEEENSB_IJLi1ELi0ELi2EEEESD_Li2ELi2ELi2ELb0ELi0ESC_SD_SD_Li2ELi2ELi2ELb0ELi0ELi1ELi2ENSB_IJLi1ELi32ELi1ELi4EEEELi2ELNS_26BlockGemmPipelineSchedulerE0ELNS_24BlockGemmPipelineVersionE2EffLb0ELb0ELb0ELi0ELb0EEELb1ELNS_25InMemoryDataOperationEnumE1ELi2ELNS_10TailNumberE10EEEvNT_8ArgumentE,"axG",@progbits,_ZN2ck27kernel_gemm_xdl_cshuffle_v3INS_28GridwiseGemm_xdl_cshuffle_v3INS_13tensor_layout4gemm8RowMajorENS3_11ColumnMajorES4_fffffNS_16tensor_operation12element_wise11PassThroughES8_S8_LNS6_6device18GemmSpecializationE0ELi128ELi64ELi64ELi64ELi4ELi4ELi16ELi16ELi2ELi4ENS_8SequenceIJLi4ELi32ELi1EEEENSB_IJLi1ELi0ELi2EEEESD_Li2ELi2ELi2ELb0ELi0ESC_SD_SD_Li2ELi2ELi2ELb0ELi0ELi1ELi2ENSB_IJLi1ELi32ELi1ELi4EEEELi2ELNS_26BlockGemmPipelineSchedulerE0ELNS_24BlockGemmPipelineVersionE2EffLb0ELb0ELb0ELi0ELb0EEELb1ELNS_25InMemoryDataOperationEnumE1ELi2ELNS_10TailNumberE10EEEvNT_8ArgumentE,comdat
	.protected	_ZN2ck27kernel_gemm_xdl_cshuffle_v3INS_28GridwiseGemm_xdl_cshuffle_v3INS_13tensor_layout4gemm8RowMajorENS3_11ColumnMajorES4_fffffNS_16tensor_operation12element_wise11PassThroughES8_S8_LNS6_6device18GemmSpecializationE0ELi128ELi64ELi64ELi64ELi4ELi4ELi16ELi16ELi2ELi4ENS_8SequenceIJLi4ELi32ELi1EEEENSB_IJLi1ELi0ELi2EEEESD_Li2ELi2ELi2ELb0ELi0ESC_SD_SD_Li2ELi2ELi2ELb0ELi0ELi1ELi2ENSB_IJLi1ELi32ELi1ELi4EEEELi2ELNS_26BlockGemmPipelineSchedulerE0ELNS_24BlockGemmPipelineVersionE2EffLb0ELb0ELb0ELi0ELb0EEELb1ELNS_25InMemoryDataOperationEnumE1ELi2ELNS_10TailNumberE10EEEvNT_8ArgumentE ; -- Begin function _ZN2ck27kernel_gemm_xdl_cshuffle_v3INS_28GridwiseGemm_xdl_cshuffle_v3INS_13tensor_layout4gemm8RowMajorENS3_11ColumnMajorES4_fffffNS_16tensor_operation12element_wise11PassThroughES8_S8_LNS6_6device18GemmSpecializationE0ELi128ELi64ELi64ELi64ELi4ELi4ELi16ELi16ELi2ELi4ENS_8SequenceIJLi4ELi32ELi1EEEENSB_IJLi1ELi0ELi2EEEESD_Li2ELi2ELi2ELb0ELi0ESC_SD_SD_Li2ELi2ELi2ELb0ELi0ELi1ELi2ENSB_IJLi1ELi32ELi1ELi4EEEELi2ELNS_26BlockGemmPipelineSchedulerE0ELNS_24BlockGemmPipelineVersionE2EffLb0ELb0ELb0ELi0ELb0EEELb1ELNS_25InMemoryDataOperationEnumE1ELi2ELNS_10TailNumberE10EEEvNT_8ArgumentE
	.globl	_ZN2ck27kernel_gemm_xdl_cshuffle_v3INS_28GridwiseGemm_xdl_cshuffle_v3INS_13tensor_layout4gemm8RowMajorENS3_11ColumnMajorES4_fffffNS_16tensor_operation12element_wise11PassThroughES8_S8_LNS6_6device18GemmSpecializationE0ELi128ELi64ELi64ELi64ELi4ELi4ELi16ELi16ELi2ELi4ENS_8SequenceIJLi4ELi32ELi1EEEENSB_IJLi1ELi0ELi2EEEESD_Li2ELi2ELi2ELb0ELi0ESC_SD_SD_Li2ELi2ELi2ELb0ELi0ELi1ELi2ENSB_IJLi1ELi32ELi1ELi4EEEELi2ELNS_26BlockGemmPipelineSchedulerE0ELNS_24BlockGemmPipelineVersionE2EffLb0ELb0ELb0ELi0ELb0EEELb1ELNS_25InMemoryDataOperationEnumE1ELi2ELNS_10TailNumberE10EEEvNT_8ArgumentE
	.p2align	8
	.type	_ZN2ck27kernel_gemm_xdl_cshuffle_v3INS_28GridwiseGemm_xdl_cshuffle_v3INS_13tensor_layout4gemm8RowMajorENS3_11ColumnMajorES4_fffffNS_16tensor_operation12element_wise11PassThroughES8_S8_LNS6_6device18GemmSpecializationE0ELi128ELi64ELi64ELi64ELi4ELi4ELi16ELi16ELi2ELi4ENS_8SequenceIJLi4ELi32ELi1EEEENSB_IJLi1ELi0ELi2EEEESD_Li2ELi2ELi2ELb0ELi0ESC_SD_SD_Li2ELi2ELi2ELb0ELi0ELi1ELi2ENSB_IJLi1ELi32ELi1ELi4EEEELi2ELNS_26BlockGemmPipelineSchedulerE0ELNS_24BlockGemmPipelineVersionE2EffLb0ELb0ELb0ELi0ELb0EEELb1ELNS_25InMemoryDataOperationEnumE1ELi2ELNS_10TailNumberE10EEEvNT_8ArgumentE,@function
_ZN2ck27kernel_gemm_xdl_cshuffle_v3INS_28GridwiseGemm_xdl_cshuffle_v3INS_13tensor_layout4gemm8RowMajorENS3_11ColumnMajorES4_fffffNS_16tensor_operation12element_wise11PassThroughES8_S8_LNS6_6device18GemmSpecializationE0ELi128ELi64ELi64ELi64ELi4ELi4ELi16ELi16ELi2ELi4ENS_8SequenceIJLi4ELi32ELi1EEEENSB_IJLi1ELi0ELi2EEEESD_Li2ELi2ELi2ELb0ELi0ESC_SD_SD_Li2ELi2ELi2ELb0ELi0ELi1ELi2ENSB_IJLi1ELi32ELi1ELi4EEEELi2ELNS_26BlockGemmPipelineSchedulerE0ELNS_24BlockGemmPipelineVersionE2EffLb0ELb0ELb0ELi0ELb0EEELb1ELNS_25InMemoryDataOperationEnumE1ELi2ELNS_10TailNumberE10EEEvNT_8ArgumentE: ; @_ZN2ck27kernel_gemm_xdl_cshuffle_v3INS_28GridwiseGemm_xdl_cshuffle_v3INS_13tensor_layout4gemm8RowMajorENS3_11ColumnMajorES4_fffffNS_16tensor_operation12element_wise11PassThroughES8_S8_LNS6_6device18GemmSpecializationE0ELi128ELi64ELi64ELi64ELi4ELi4ELi16ELi16ELi2ELi4ENS_8SequenceIJLi4ELi32ELi1EEEENSB_IJLi1ELi0ELi2EEEESD_Li2ELi2ELi2ELb0ELi0ESC_SD_SD_Li2ELi2ELi2ELb0ELi0ELi1ELi2ENSB_IJLi1ELi32ELi1ELi4EEEELi2ELNS_26BlockGemmPipelineSchedulerE0ELNS_24BlockGemmPipelineVersionE2EffLb0ELb0ELb0ELi0ELb0EEELb1ELNS_25InMemoryDataOperationEnumE1ELi2ELNS_10TailNumberE10EEEvNT_8ArgumentE
; %bb.0:
	s_load_dwordx8 s[16:23], s[0:1], 0x10
	s_load_dwordx2 s[8:9], s[0:1], 0x60
	s_load_dword s12, s[0:1], 0x68
	s_load_dword s15, s[0:1], 0x3c
	s_load_dwordx4 s[4:7], s[0:1], 0x50
	s_waitcnt lgkmcnt(0)
	s_cmp_gt_i32 s22, 1
	s_cselect_b64 s[10:11], -1, 0
	s_bitcmp1_b32 s12, 0
	s_cselect_b64 s[12:13], -1, 0
	s_and_b64 s[10:11], s[10:11], s[12:13]
	s_andn2_b64 vcc, exec, s[10:11]
	s_mov_b64 s[10:11], 0
	s_cbranch_vccnz .LBB1_2
; %bb.1:
	s_mul_i32 s10, s16, s3
	s_mul_i32 s10, s10, s17
	s_ashr_i32 s11, s10, 31
.LBB1_2:
	s_load_dword s14, s[0:1], 0x34
	s_add_i32 s12, s16, -1
	s_cmp_lt_u32 s12, 64
	s_mov_b32 s13, 0
	s_cbranch_scc1 .LBB1_10
; %bb.3:
	s_add_i32 s0, s17, -1
	s_cmp_lt_u32 s0, 64
	s_mov_b32 s0, 0
	s_cbranch_scc1 .LBB1_9
; %bb.4:
	s_add_i32 s0, s16, 63
	s_ashr_i32 s1, s0, 31
	s_lshr_b32 s1, s1, 26
	s_add_i32 s0, s0, s1
	s_ashr_i32 s23, s0, 6
	s_add_i32 s0, s17, 63
	s_ashr_i32 s1, s0, 31
	s_lshr_b32 s1, s1, 26
	s_add_i32 s0, s0, s1
	s_ashr_i32 s13, s0, 6
	s_mul_i32 s0, s13, s23
	s_add_i32 s1, s0, 7
	s_ashr_i32 s24, s1, 31
	s_lshr_b32 s24, s24, 29
	s_add_i32 s1, s1, s24
	s_ashr_i32 s24, s1, 3
	s_and_b32 s1, s1, -8
	s_sub_i32 s25, s0, s1
	s_ashr_i32 s0, s2, 31
	s_lshr_b32 s0, s0, 29
	s_add_i32 s27, s2, s0
	s_and_b32 s0, s27, -8
	s_add_i32 s25, s25, 8
	s_sub_i32 s26, s2, s0
	s_cmp_gt_i32 s26, s25
	s_cbranch_scc1 .LBB1_6
; %bb.5:
	s_mul_i32 s2, s24, s26
	s_ashr_i32 s0, s27, 3
	s_cbranch_execz .LBB1_7
	s_branch .LBB1_8
.LBB1_6:
                                        ; implicit-def: $sgpr2
	s_ashr_i32 s0, s27, 3
.LBB1_7:
	s_add_i32 s1, s24, -1
	s_mul_i32 s1, s1, s26
	s_add_i32 s2, s25, s1
.LBB1_8:
	s_abs_i32 s1, s13
	v_cvt_f32_u32_e32 v1, s1
	s_sub_i32 s25, 0, s1
	s_add_i32 s0, s2, s0
	s_abs_i32 s24, s0
	v_rcp_iflag_f32_e32 v1, v1
	s_xor_b32 s2, s0, s13
	s_ashr_i32 s2, s2, 31
	v_mul_f32_e32 v1, 0x4f7ffffe, v1
	v_cvt_u32_f32_e32 v1, v1
	s_nop 0
	v_readfirstlane_b32 s26, v1
	s_mul_i32 s25, s25, s26
	s_mul_hi_u32 s25, s26, s25
	s_add_i32 s26, s26, s25
	s_mul_hi_u32 s25, s24, s26
	s_mul_i32 s26, s25, s1
	s_sub_i32 s24, s24, s26
	s_add_i32 s27, s25, 1
	s_sub_i32 s26, s24, s1
	s_cmp_ge_u32 s24, s1
	s_cselect_b32 s25, s27, s25
	s_cselect_b32 s24, s26, s24
	s_add_i32 s26, s25, 1
	s_cmp_ge_u32 s24, s1
	s_cselect_b32 s1, s26, s25
	s_xor_b32 s1, s1, s2
	s_lshr_b32 s24, s23, 30
	s_sub_i32 s1, s1, s2
	s_add_i32 s24, s23, s24
	s_mul_i32 s2, s1, s13
	s_sub_i32 s0, s0, s2
	s_and_b32 s2, s24, -4
	s_sub_i32 s23, s23, s2
	s_cmp_ge_i32 s1, s2
	s_cselect_b32 s2, s23, 4
	s_abs_i32 s24, s2
	v_cvt_f32_u32_e32 v1, s24
	s_ashr_i32 s23, s1, 31
	s_lshr_b32 s23, s23, 30
	s_add_i32 s23, s1, s23
	v_rcp_iflag_f32_e32 v1, v1
	s_and_b32 s23, s23, -4
	s_sub_i32 s23, s1, s23
	s_sub_i32 s26, 0, s24
	v_mul_f32_e32 v1, 0x4f7ffffe, v1
	v_cvt_u32_f32_e32 v1, v1
	s_mul_i32 s13, s23, s13
	s_add_i32 s13, s13, s0
	s_abs_i32 s25, s13
	v_readfirstlane_b32 s27, v1
	s_mul_i32 s26, s26, s27
	s_mul_hi_u32 s26, s27, s26
	s_add_i32 s27, s27, s26
	s_mul_hi_u32 s26, s25, s27
	s_mul_i32 s27, s26, s24
	s_xor_b32 s0, s13, s2
	s_sub_i32 s25, s25, s27
	s_ashr_i32 s0, s0, 31
	s_add_i32 s27, s26, 1
	s_sub_i32 s28, s25, s24
	s_cmp_ge_u32 s25, s24
	s_cselect_b32 s26, s27, s26
	s_cselect_b32 s25, s28, s25
	s_add_i32 s27, s26, 1
	s_cmp_ge_u32 s25, s24
	s_cselect_b32 s24, s27, s26
	s_xor_b32 s24, s24, s0
	s_sub_i32 s0, s24, s0
	s_mul_i32 s2, s0, s2
	s_sub_i32 s2, s13, s2
	s_add_i32 s2, s2, s1
	s_sub_i32 s2, s2, s23
.LBB1_9:
	s_mov_b32 s13, s2
	s_mov_b32 s2, s0
.LBB1_10:
	s_waitcnt lgkmcnt(0)
	s_mul_i32 s0, s14, s3
	s_ashr_i32 s1, s0, 31
	s_lshl_b64 s[24:25], s[0:1], 2
	s_add_u32 s0, s4, s24
	s_addc_u32 s1, s5, s25
	s_add_u32 s4, s6, s24
	s_addc_u32 s5, s7, s25
	s_add_i32 s22, s22, -1
	s_mul_i32 s23, s22, s14
	v_lshrrev_b32_e32 v163, 1, v0
	s_add_i32 s7, s17, 0x3fffffff
	s_sub_i32 s18, s18, s23
	v_lshlrev_b32_e32 v1, 2, v0
	v_and_b32_e32 v164, 62, v163
	s_cmp_lt_u32 s3, s22
	v_and_b32_e32 v195, 12, v1
	v_lshl_or_b32 v1, s13, 6, v164
	s_cselect_b32 s18, s14, s18
	s_lshl_b32 s14, s2, 6
	v_mul_lo_u32 v162, v1, s19
	v_bitop3_b32 v199, v163, v195, 14 bitop3:0x6c
	v_lshlrev_b32_e32 v1, 6, v164
	s_ashr_i32 s2, s15, 31
	v_lshl_or_b32 v15, v199, 2, v1
	v_or_b32_e32 v1, s14, v164
	s_lshr_b32 s2, s2, 28
	v_lshlrev_b32_e32 v2, 2, v195
	v_mul_lo_u32 v165, v1, s20
	v_and_b32_e32 v194, 15, v0
	v_lshrrev_b32_e32 v1, 2, v0
	s_add_i32 s15, s15, s2
	s_mul_i32 s6, s12, s19
	s_mul_i32 s7, s7, s20
	v_add_u32_e32 v14, v162, v2
	v_and_b32_e32 v122, 14, v163
	v_add_u32_e32 v54, v165, v2
	v_and_or_b32 v123, v1, 16, v194
	v_and_b32_e32 v166, 12, v1
	v_bitop3_b32 v167, v1, v194, 12 bitop3:0x6c
	s_ashr_i32 s15, s15, 4
	; sched_barrier mask(0x00000000)
	v_add_u32_e32 v16, 12, v14
	s_add_i32 s2, s18, s6
	v_add_lshl_u32 v17, v16, s19, 2
	s_lshl_b32 s2, s2, 2
	s_and_b32 s1, s1, 0xffff
	s_mov_b32 s3, 0x20000
	v_lshlrev_b32_e32 v36, 2, v14
	v_subrev_u32_e32 v8, 40, v17
	buffer_load_dwordx4 v[2:5], v36, s[0:3], 0 offen
	v_subrev_u32_e32 v6, 32, v17
	v_subrev_u32_e32 v7, 24, v17
	v_add_lshl_u32 v9, v14, s19, 2
	buffer_load_dwordx2 v[12:13], v8, s[0:3], 0 offen
	buffer_load_dwordx2 v[10:11], v9, s[0:3], 0 offen
	buffer_load_dwordx2 v[28:29], v6, s[0:3], 0 offen
	buffer_load_dwordx2 v[34:35], v7, s[0:3], 0 offen
	buffer_load_dwordx4 v[24:27], v36, s[0:3], 0 offen offset:16
	v_add_u32_e32 v18, -8, v17
	v_add_u32_e32 v19, -16, v17
	buffer_load_dwordx2 v[6:7], v18, s[0:3], 0 offen
	buffer_load_dwordx2 v[8:9], v19, s[0:3], 0 offen
	v_add_u32_e32 v18, 12, v54
	s_add_i32 s18, s18, s7
	v_bitop3_b32 v21, v122, v195, 1 bitop3:0x14
	v_bitop3_b32 v22, v195, v122, 1 bitop3:0x36
	;; [unrolled: 1-line block ×3, first 2 shown]
	v_add_u32_e32 v37, 0x4c, v14
	v_lshlrev_b32_e32 v14, 2, v16
	v_lshlrev_b32_e32 v16, 2, v18
	v_add_lshl_u32 v18, v18, s20, 2
	s_and_b32 s5, s5, 0xffff
	v_bitop3_b32 v20, v122, v195, 1 bitop3:0x36
	s_lshl_b32 s6, s18, 2
	s_mov_b32 s7, s3
	v_sub_u32_e32 v39, v22, v21
	v_sub_u32_e32 v40, v126, v22
	v_subrev_u32_e32 v22, 40, v18
	v_lshlrev_b32_e32 v55, 2, v54
	v_add_lshl_u32 v19, v54, s20, 2
	v_sub_u32_e32 v23, v20, v199
	v_sub_u32_e32 v38, v21, v20
	buffer_load_dwordx4 v[30:33], v36, s[0:3], 0 offen offset:32
	buffer_load_dwordx2 v[106:107], v36, s[0:3], 0 offen offset:56
	buffer_load_dwordx2 v[108:109], v14, s[0:3], 0 offen
	buffer_load_dwordx4 v[58:61], v17, s[0:3], 0 offen
	buffer_load_dwordx4 v[70:73], v55, s[4:7], 0 offen
	v_add_u32_e32 v14, -8, v18
	v_add_u32_e32 v17, -16, v18
	v_subrev_u32_e32 v20, 32, v18
	v_subrev_u32_e32 v21, 24, v18
	buffer_load_dwordx2 v[92:93], v22, s[4:7], 0 offen
	buffer_load_dwordx2 v[90:91], v19, s[4:7], 0 offen
	;; [unrolled: 1-line block ×6, first 2 shown]
	buffer_load_dwordx4 v[94:97], v55, s[4:7], 0 offen offset:16
	buffer_load_dwordx4 v[98:101], v55, s[4:7], 0 offen offset:32
	buffer_load_dwordx2 v[118:119], v55, s[4:7], 0 offen offset:56
	buffer_load_dwordx2 v[120:121], v16, s[4:7], 0 offen
	buffer_load_dwordx4 v[102:105], v18, s[4:7], 0 offen
	v_lshlrev_b32_e32 v124, 2, v15
	v_lshl_add_u32 v127, v23, 4, v124
	v_lshlrev_b32_e32 v22, 2, v37
	v_lshl_add_u32 v23, v23, 2, v15
	v_lshl_add_u32 v128, v38, 4, v127
	buffer_load_dwordx4 v[18:21], v36, s[0:3], 0 offen offset:256
	buffer_load_dwordx4 v[14:17], v36, s[0:3], 0 offen offset:272
	v_lshl_add_u32 v38, v38, 2, v23
	buffer_load_dwordx2 v[22:23], v22, s[0:3], 0 offen
	v_lshl_add_u32 v129, v39, 4, v128
	v_lshl_add_u32 v38, v39, 2, v38
	v_lshl_add_u32 v130, v40, 4, v129
	v_lshl_add_u32 v131, v40, 2, v38
	v_or_b32_e32 v125, 1, v122
	v_or_b32_e32 v198, 3, v195
	v_bitop3_b32 v169, v195, v122, 3 bitop3:0x36
	v_or_b32_e32 v196, 1, v195
	v_or_b32_e32 v197, 2, v195
	s_mov_b32 s23, s6
	s_waitcnt vmcnt(26)
	ds_write_b128 v124, v[2:5]
	s_waitcnt vmcnt(24)
	ds_write_b128 v127, v[10:13] offset:256
	s_waitcnt vmcnt(22)
	ds_write2_b64 v128, v[28:29], v[34:35] offset0:32 offset1:33
	s_waitcnt vmcnt(21)
	ds_write2_b64 v129, v[24:25], v[26:27] offset1:1
	v_add_lshl_u32 v2, v37, s19, 2
	v_add_u32_e32 v3, -8, v2
	buffer_load_dwordx4 v[26:29], v36, s[0:3], 0 offen offset:288
	buffer_load_dwordx2 v[24:25], v36, s[0:3], 0 offen offset:312
	buffer_load_dwordx4 v[42:45], v2, s[0:3], 0 offen
	s_nop 0
	buffer_load_dwordx2 v[36:37], v3, s[0:3], 0 offen
	v_add_u32_e32 v3, -16, v2
	v_subrev_u32_e32 v4, 32, v2
	v_subrev_u32_e32 v5, 24, v2
	;; [unrolled: 1-line block ×4, first 2 shown]
	buffer_load_dwordx2 v[34:35], v3, s[0:3], 0 offen
	buffer_load_dwordx2 v[62:63], v4, s[0:3], 0 offen
	;; [unrolled: 1-line block ×5, first 2 shown]
	buffer_load_dwordx4 v[38:41], v55, s[4:7], 0 offen offset:256
	buffer_load_dwordx4 v[46:49], v55, s[4:7], 0 offen offset:272
	;; [unrolled: 1-line block ×3, first 2 shown]
	buffer_load_dwordx2 v[56:57], v55, s[4:7], 0 offen offset:312
	v_add_u32_e32 v2, 0x4c, v54
	v_lshlrev_b32_e32 v3, 2, v2
	v_add_lshl_u32 v2, v2, s20, 2
	buffer_load_dwordx2 v[54:55], v3, s[4:7], 0 offen
	v_add_u32_e32 v3, -8, v2
	buffer_load_dwordx4 v[78:81], v2, s[4:7], 0 offen
	buffer_load_dwordx2 v[76:77], v3, s[4:7], 0 offen
	v_add_u32_e32 v3, -16, v2
	v_subrev_u32_e32 v4, 32, v2
	v_subrev_u32_e32 v5, 24, v2
	;; [unrolled: 1-line block ×3, first 2 shown]
	buffer_load_dwordx2 v[74:75], v3, s[4:7], 0 offen
	buffer_load_dwordx2 v[86:87], v4, s[4:7], 0 offen
	;; [unrolled: 1-line block ×4, first 2 shown]
	v_subrev_u32_e32 v2, 48, v2
	buffer_load_dwordx2 v[82:83], v2, s[4:7], 0 offen
	v_bitop3_b32 v2, v195, v125, 2 bitop3:0x36
	v_sub_u32_e32 v3, v2, v126
	v_bitop3_b32 v5, v122, v198, 1 bitop3:0x36
	v_lshl_add_u32 v4, v3, 4, v130
	v_sub_u32_e32 v2, v5, v2
	v_lshlrev_b32_e32 v3, 2, v3
	v_lshlrev_b32_e32 v10, 2, v2
	v_lshl_add_u32 v2, v2, 4, v4
	v_sub_u32_e32 v170, v169, v5
	v_add_u32_e32 v5, 0x4100, v128
	s_waitcnt vmcnt(39)
	ds_write2_b64 v130, v[30:31], v[32:33] offset1:1
	v_add3_u32 v168, v3, v131, v10
	ds_write2_b64 v4, v[8:9], v[6:7] offset0:32 offset1:33
	v_lshl_add_u32 v3, v170, 4, v2
	s_waitcnt vmcnt(36)
	ds_write2_b64 v2, v[58:59], v[60:61] offset0:32 offset1:33
	ds_write2_b64 v3, v[108:109], v[106:107] offset1:1
	s_waitcnt vmcnt(35)
	ds_write_b128 v124, v[70:73] offset:16384
	s_waitcnt vmcnt(33)
	ds_write_b128 v127, v[90:93] offset:16640
	s_waitcnt vmcnt(29)
	ds_write2_b64 v5, v[114:115], v[116:117] offset1:1
	v_add_u32_e32 v5, 0x4000, v129
	s_waitcnt vmcnt(28)
	ds_write2_b64 v5, v[94:95], v[96:97] offset1:1
	v_add_u32_e32 v5, 0x4000, v130
	v_add_u32_e32 v4, 0x4100, v4
	;; [unrolled: 1-line block ×3, first 2 shown]
	s_waitcnt vmcnt(27)
	ds_write2_b64 v5, v[98:99], v[100:101] offset1:1
	ds_write2_b64 v4, v[112:113], v[110:111] offset1:1
	s_waitcnt vmcnt(24)
	ds_write2_b64 v2, v[102:103], v[104:105] offset1:1
	v_add_u32_e32 v2, 0x4000, v3
	ds_write2_b64 v2, v[120:121], v[118:119] offset1:1
	v_lshlrev_b32_e32 v2, 4, v167
	v_lshl_or_b32 v200, v123, 8, v2
	v_lshl_or_b32 v201, v194, 8, v2
	v_bitop3_b32 v2, v166, v194, 1 bitop3:0x36
	v_sub_u32_e32 v2, v2, v167
	v_lshlrev_b32_e32 v2, 4, v2
	v_add_u32_e32 v202, v200, v2
	v_add_u32_e32 v203, v201, v2
	v_bitop3_b32 v2, v166, v194, 2 bitop3:0x36
	v_sub_u32_e32 v2, v2, v167
	v_lshlrev_b32_e32 v2, 4, v2
	v_add_u32_e32 v204, v200, v2
	v_add_u32_e32 v205, v201, v2
	;; [unrolled: 5-line block ×3, first 2 shown]
	s_waitcnt lgkmcnt(0)
	s_barrier
	ds_read_b128 v[142:145], v200
	ds_read_b128 v[98:101], v200 offset:8192
	ds_read_b128 v[154:157], v201 offset:16384
	ds_read_b128 v[158:161], v201 offset:20480
	ds_read_b128 v[150:153], v201 offset:24576
	ds_read_b128 v[146:149], v201 offset:28672
	ds_read_b128 v[110:113], v202
	ds_read_b128 v[94:97], v202 offset:8192
	ds_read_b128 v[114:117], v203 offset:16384
	ds_read_b128 v[122:125], v203 offset:20480
	ds_read_b128 v[134:137], v203 offset:24576
	ds_read_b128 v[138:141], v203 offset:28672
	;; [unrolled: 6-line block ×4, first 2 shown]
	v_sub_u32_e32 v167, v199, v169
	v_lshlrev_b32_e32 v166, 2, v170
	v_lshlrev_b32_e32 v167, 2, v167
	v_add3_u32 v210, v168, v166, v167
	; sched_barrier mask(0x00000000)
	v_or_b32_e32 v208, 1, v163
	s_max_i32 s6, s15, 2
	v_sub_u32_e32 v163, v208, v164
	v_and_b32_e32 v164, 3, v0
	v_add_lshl_u32 v215, v162, s19, 2
	v_lshlrev_b32_e32 v216, 2, v162
	v_mov_b32_e32 v162, 0
	v_lshlrev_b32_e32 v209, 6, v163
	v_lshlrev_b32_e32 v211, 6, v164
	v_add_lshl_u32 v212, v165, s20, 2
	v_lshlrev_b32_e32 v213, 2, v165
	v_add_u32_e32 v214, -1, v163
	s_add_i32 s15, s6, -1
	s_movk_i32 s18, 0x100
	s_movk_i32 s19, 0x3f00
	v_not_b32_e32 v217, 63
	s_mov_b32 s6, s23
	v_mov_b32_e32 v218, v210
	v_mov_b32_e32 v163, v162
	;; [unrolled: 1-line block ×32, first 2 shown]
.LBB1_11:                               ; =>This Inner Loop Header: Depth=1
	v_lshlrev_b32_e32 v219, 2, v218
	v_add_u32_e32 v222, v211, v216
	s_waitcnt lgkmcnt(0)
	s_barrier
	s_waitcnt vmcnt(15)
	ds_write2_b64 v219, v[18:19], v[20:21] offset1:1
	buffer_load_dwordx4 v[18:21], v222, s[0:3], 0 offen offset:512
	v_mfma_f32_16x16x4_f32 v[182:185], v142, v154, v[182:185]
	v_ashrrev_i32_e32 v220, 31, v208
	v_add_u32_e32 v221, -1, v208
	v_lshrrev_b32_e32 v220, 28, v220
	v_ashrrev_i32_e32 v223, 31, v221
	v_add_u32_e32 v220, v208, v220
	v_lshrrev_b32_e32 v223, 28, v223
	v_and_b32_e32 v220, -16, v220
	v_add_u32_e32 v223, v221, v223
	v_sub_u32_e32 v220, v208, v220
	v_mfma_f32_16x16x4_f32 v[182:185], v143, v155, v[182:185]
	v_and_b32_e32 v223, -16, v223
	v_xor_b32_e32 v224, v220, v195
	v_sub_u32_e32 v226, v221, v223
	v_sub_u32_e32 v199, v224, v199
	v_xor_b32_e32 v225, v220, v196
	v_xor_b32_e32 v221, v226, v196
	v_lshl_add_u32 v227, v199, 2, v209
	v_sub_u32_e32 v224, v225, v224
	v_sub_u32_e32 v223, v221, v225
	v_lshlrev_b32_e32 v225, 2, v227
	v_lshlrev_b32_e32 v199, 4, v224
	v_add_u32_e32 v219, v219, v225
	v_lshl_add_u32 v228, v223, 2, v217
	s_waitcnt vmcnt(12)
	ds_write2_b64 v219, v[66:67], v[68:69] offset1:1
	v_add_u32_e32 v66, v219, v199
	s_waitcnt vmcnt(11)
	ds_write2_b64 v66, v[62:63], v[64:65] offset1:1
	v_lshl_add_u32 v66, v228, 2, v66
	v_mfma_f32_16x16x4_f32 v[182:185], v144, v156, v[182:185]
	ds_write2_b64 v66, v[14:15], v[16:17] offset1:1
	buffer_load_dwordx4 v[14:17], v222, s[0:3], 0 offen offset:528
	v_xor_b32_e32 v230, v226, v198
	; sched_group_barrier mask(0x00000020) size(1) SyncID(0)
	; sched_group_barrier mask(0x00000008) size(3) SyncID(0)
	;; [unrolled: 1-line block ×3, first 2 shown]
	v_mfma_f32_16x16x4_f32 v[62:65], v142, v158, v[174:177]
	v_mfma_f32_16x16x4_f32 v[62:65], v143, v159, v[62:65]
	;; [unrolled: 1-line block ×3, first 2 shown]
	s_nop 3
	v_xor_b32_e32 v182, v226, v197
	v_sub_u32_e32 v219, v182, v221
	v_lshlrev_b32_e32 v221, 4, v219
	v_add_u32_e32 v183, v66, v221
	ds_write2_b64 v183, v[26:27], v[28:29] offset1:1
	buffer_load_dwordx4 v[26:29], v222, s[0:3], 0 offen offset:544
	; sched_group_barrier mask(0x00000008) size(3) SyncID(0)
	; sched_group_barrier mask(0x00000020) size(1) SyncID(0)
	v_mfma_f32_16x16x4_f32 v[62:65], v144, v160, v[62:65]
	v_mfma_f32_16x16x4_f32 v[66:69], v142, v150, v[178:181]
	v_xor_b32_e32 v178, v220, v197
	v_xor_b32_e32 v179, v220, v198
	v_sub_u32_e32 v231, v178, v182
	v_sub_u32_e32 v229, v179, v178
	v_lshlrev_b32_e32 v233, 4, v231
	v_lshlrev_b32_e32 v220, 4, v229
	v_sub_u32_e32 v232, v230, v179
	v_mfma_f32_16x16x4_f32 v[178:181], v145, v161, v[62:65]
	s_nop 0
	v_add_u32_e32 v62, v183, v233
	v_lshl_add_u32 v234, v232, 2, v217
	s_waitcnt vmcnt(12)
	ds_write2_b64 v62, v[34:35], v[36:37] offset0:32 offset1:33
	v_add3_u32 v34, v62, s18, v220
	s_waitcnt vmcnt(11)
	ds_write2_b64 v34, v[42:43], v[44:45] offset1:1
	v_lshl_add_u32 v34, v234, 2, v34
	ds_write2_b64 v34, v[22:23], v[24:25] offset1:1
	buffer_load_dwordx4 v[22:25], v222, s[0:3], 0 offen offset:560
	v_mfma_f32_16x16x4_f32 v[34:37], v143, v151, v[66:69]
	v_add_u32_e32 v222, v211, v215
	; sched_group_barrier mask(0x00000008) size(3) SyncID(0)
	; sched_group_barrier mask(0x00000020) size(1) SyncID(0)
	v_mfma_f32_16x16x4_f32 v[34:37], v144, v152, v[34:37]
	v_mfma_f32_16x16x4_f32 v[182:185], v145, v153, v[34:37]
	buffer_load_dwordx4 v[66:69], v222, s[0:3], 0 offen offset:512
	; sched_group_barrier mask(0x00000008) size(3) SyncID(0)
	; sched_group_barrier mask(0x00000020) size(1) SyncID(0)
	v_mfma_f32_16x16x4_f32 v[34:37], v142, v146, v[170:173]
	v_mfma_f32_16x16x4_f32 v[34:37], v143, v147, v[34:37]
	;; [unrolled: 1-line block ×3, first 2 shown]
	buffer_load_dwordx4 v[62:65], v222, s[0:3], 0 offen offset:528
	; sched_group_barrier mask(0x00000008) size(3) SyncID(0)
	; sched_group_barrier mask(0x00000020) size(1) SyncID(0)
	v_mfma_f32_16x16x4_f32 v[42:45], v98, v154, v[186:189]
	v_mfma_f32_16x16x4_f32 v[42:45], v99, v155, v[42:45]
	v_mfma_f32_16x16x4_f32 v[142:145], v145, v149, v[34:37]
	s_nop 5
	buffer_load_dwordx4 v[34:37], v222, s[0:3], 0 offen offset:544
	; sched_group_barrier mask(0x00000008) size(3) SyncID(0)
	; sched_group_barrier mask(0x00000020) size(1) SyncID(0)
	v_mfma_f32_16x16x4_f32 v[170:173], v98, v158, v[190:193]
	v_mfma_f32_16x16x4_f32 v[42:45], v100, v156, v[42:45]
	v_mfma_f32_16x16x4_f32 v[154:157], v101, v157, v[42:45]
	s_nop 8
	;; [unrolled: 7-line block ×3, first 2 shown]
	v_lshlrev_b32_e32 v170, 2, v210
	v_add_u32_e32 v171, v211, v213
	v_add_u32_e32 v172, 0x4000, v170
	s_waitcnt vmcnt(15)
	ds_write2_b64 v172, v[38:39], v[40:41] offset1:1
	buffer_load_dwordx4 v[38:41], v171, s[4:7], 0 offen offset:512
	; sched_group_barrier mask(0x00000008) size(3) SyncID(0)
	; sched_group_barrier mask(0x00000020) size(1) SyncID(0)
	v_mfma_f32_16x16x4_f32 v[166:169], v98, v150, v[166:169]
	v_add_u32_e32 v150, v170, v225
	v_mfma_f32_16x16x4_f32 v[166:169], v99, v151, v[166:169]
	v_add_u32_e32 v151, 0x4000, v150
	v_add_u32_e32 v150, v150, v199
	v_lshl_add_u32 v170, v223, 4, v150
	s_waitcnt vmcnt(9)
	ds_write2_b64 v151, v[82:83], v[84:85] offset1:1
	v_xor_b32_e32 v199, v226, v195
	v_mfma_f32_16x16x4_f32 v[166:169], v100, v152, v[166:169]
	v_add_u32_e32 v152, 0x4000, v150
	v_add_u32_e32 v150, 0x3f00, v170
	ds_write2_b64 v152, v[86:87], v[88:89] offset1:1
	ds_write2_b64 v150, v[46:47], v[48:49] offset1:1
	buffer_load_dwordx4 v[46:49], v171, s[4:7], 0 offen offset:528
	; sched_group_barrier mask(0x00000008) size(3) SyncID(0)
	; sched_group_barrier mask(0x00000020) size(1) SyncID(0)
	v_mfma_f32_16x16x4_f32 v[82:85], v98, v146, v[162:165]
	v_add_u32_e32 v98, v170, v221
	v_add_u32_e32 v86, 0x3f00, v98
	ds_write2_b64 v86, v[50:51], v[52:53] offset1:1
	v_lshlrev_b32_e32 v146, 4, v232
	v_add_u32_e32 v170, v211, v212
	v_mfma_f32_16x16x4_f32 v[82:85], v99, v147, v[82:85]
	v_add_u32_e32 v147, v98, v233
	v_mfma_f32_16x16x4_f32 v[150:153], v101, v153, v[166:169]
	buffer_load_dwordx4 v[50:53], v171, s[4:7], 0 offen offset:544
	; sched_group_barrier mask(0x00000008) size(3) SyncID(0)
	; sched_group_barrier mask(0x00000020) size(1) SyncID(0)
	v_mfma_f32_16x16x4_f32 v[82:85], v100, v148, v[82:85]
	v_add_u32_e32 v148, v147, v220
	v_mfma_f32_16x16x4_f32 v[86:89], v110, v114, v[174:177]
	v_mfma_f32_16x16x4_f32 v[98:101], v101, v149, v[82:85]
	s_nop 6
	v_add_u32_e32 v82, 0x4000, v147
	v_add_u32_e32 v83, 0x4000, v148
	v_add3_u32 v84, v148, v146, s19
	ds_write2_b64 v82, v[74:75], v[76:77] offset1:1
	ds_write2_b64 v83, v[78:79], v[80:81] offset1:1
	;; [unrolled: 1-line block ×3, first 2 shown]
	buffer_load_dwordx4 v[54:57], v171, s[4:7], 0 offen offset:560
	v_mfma_f32_16x16x4_f32 v[74:77], v111, v115, v[86:89]
	; sched_group_barrier mask(0x00000008) size(3) SyncID(0)
	; sched_group_barrier mask(0x00000020) size(1) SyncID(0)
	v_mfma_f32_16x16x4_f32 v[74:77], v112, v116, v[74:77]
	v_mfma_f32_16x16x4_f32 v[146:149], v113, v117, v[74:77]
	buffer_load_dwordx4 v[82:85], v170, s[4:7], 0 offen offset:512
	; sched_group_barrier mask(0x00000008) size(3) SyncID(0)
	; sched_group_barrier mask(0x00000020) size(1) SyncID(0)
	v_mfma_f32_16x16x4_f32 v[74:77], v110, v122, v[178:181]
	v_mfma_f32_16x16x4_f32 v[74:77], v111, v123, v[74:77]
	v_mfma_f32_16x16x4_f32 v[74:77], v112, v124, v[74:77]
	buffer_load_dwordx4 v[86:89], v170, s[4:7], 0 offen offset:528
	; sched_group_barrier mask(0x00000008) size(3) SyncID(0)
	; sched_group_barrier mask(0x00000020) size(1) SyncID(0)
	v_mfma_f32_16x16x4_f32 v[78:81], v110, v134, v[182:185]
	v_mfma_f32_16x16x4_f32 v[78:81], v111, v135, v[78:81]
	;; [unrolled: 1-line block ×3, first 2 shown]
	s_nop 5
	buffer_load_dwordx4 v[74:77], v170, s[4:7], 0 offen offset:544
	; sched_group_barrier mask(0x00000008) size(3) SyncID(0)
	; sched_group_barrier mask(0x00000020) size(1) SyncID(0)
	v_mfma_f32_16x16x4_f32 v[142:145], v110, v138, v[142:145]
	v_mfma_f32_16x16x4_f32 v[78:81], v112, v136, v[78:81]
	;; [unrolled: 1-line block ×3, first 2 shown]
	s_nop 8
	buffer_load_dwordx4 v[78:81], v170, s[4:7], 0 offen offset:560
	s_waitcnt lgkmcnt(0)
	s_barrier
	; sched_group_barrier mask(0x00000008) size(3) SyncID(0)
	; sched_group_barrier mask(0x00000020) size(1) SyncID(0)
	v_mfma_f32_16x16x4_f32 v[142:145], v111, v139, v[142:145]
	v_mfma_f32_16x16x4_f32 v[142:145], v112, v140, v[142:145]
	v_mfma_f32_16x16x4_f32 v[110:113], v113, v141, v[142:145]
	; sched_group_barrier mask(0x00000008) size(3) SyncID(0)
	; sched_group_barrier mask(0x00000020) size(1) SyncID(0)
	v_mfma_f32_16x16x4_f32 v[142:145], v94, v114, v[154:157]
	v_mfma_f32_16x16x4_f32 v[142:145], v95, v115, v[142:145]
	v_mfma_f32_16x16x4_f32 v[142:145], v96, v116, v[142:145]
	;; [unrolled: 5-line block ×17, first 2 shown]
	ds_read_b128 v[142:145], v200
	; sched_group_barrier mask(0x00000008) size(3) SyncID(0)
	; sched_group_barrier mask(0x00000100) size(1) SyncID(0)
	v_mfma_f32_16x16x4_f32 v[90:93], v93, v105, v[94:97]
	ds_read_b128 v[154:157], v201 offset:16384
	; sched_group_barrier mask(0x00000008) size(1) SyncID(0)
	; sched_group_barrier mask(0x00000100) size(1) SyncID(0)
	v_mfma_f32_16x16x4_f32 v[94:97], v58, v10, v[98:101]
	ds_read_b128 v[98:101], v200 offset:8192
	;; [unrolled: 4-line block ×5, first 2 shown]
	; sched_group_barrier mask(0x00000008) size(1) SyncID(0)
	; sched_group_barrier mask(0x00000100) size(1) SyncID(0)
	v_mfma_f32_16x16x4_f32 v[90:93], v2, v30, v[90:93]
	ds_read_b128 v[110:113], v202
	; sched_group_barrier mask(0x00000008) size(1) SyncID(0)
	; sched_group_barrier mask(0x00000100) size(1) SyncID(0)
	v_mfma_f32_16x16x4_f32 v[94:97], v60, v12, v[94:97]
	ds_read_b128 v[114:117], v203 offset:16384
	; sched_group_barrier mask(0x00000008) size(1) SyncID(0)
	; sched_group_barrier mask(0x00000100) size(1) SyncID(0)
	v_mfma_f32_16x16x4_f32 v[166:169], v5, v73, v[102:105]
	ds_read_b128 v[122:125], v203 offset:20480
	;; [unrolled: 4-line block ×3, first 2 shown]
	; sched_group_barrier mask(0x00000008) size(1) SyncID(0)
	; sched_group_barrier mask(0x00000100) size(1) SyncID(0)
	v_mfma_f32_16x16x4_f32 v[182:185], v61, v13, v[94:97]
	ds_read_b128 v[106:109], v204
	; sched_group_barrier mask(0x00000008) size(1) SyncID(0)
	; sched_group_barrier mask(0x00000100) size(1) SyncID(0)
	v_mfma_f32_16x16x4_f32 v[94:97], v58, v6, v[138:141]
	ds_read_b128 v[138:141], v203 offset:28672
	; sched_group_barrier mask(0x00000008) size(1) SyncID(0)
	; sched_group_barrier mask(0x00000100) size(1) SyncID(0)
	v_mfma_f32_16x16x4_f32 v[90:93], v4, v32, v[90:93]
	ds_read_b128 v[118:121], v205 offset:16384
	;; [unrolled: 4-line block ×4, first 2 shown]
	; sched_group_barrier mask(0x00000008) size(1) SyncID(0)
	; sched_group_barrier mask(0x00000100) size(1) SyncID(0)
	v_mfma_f32_16x16x4_f32 v[90:93], v60, v8, v[94:97]
	s_nop 5
	ds_read_b128 v[94:97], v202 offset:8192
	; sched_group_barrier mask(0x00000008) size(1) SyncID(0)
	; sched_group_barrier mask(0x00000100) size(1) SyncID(0)
	v_mfma_f32_16x16x4_f32 v[174:177], v61, v9, v[90:93]
	ds_read_b128 v[102:105], v205 offset:28672
	; sched_group_barrier mask(0x00000008) size(1) SyncID(0)
	; sched_group_barrier mask(0x00000100) size(1) SyncID(0)
	v_mfma_f32_16x16x4_f32 v[90:93], v58, v70, v[170:173]
	; sched_group_barrier mask(0x00000008) size(1) SyncID(0)
	v_mfma_f32_16x16x4_f32 v[90:93], v59, v71, v[90:93]
	v_mfma_f32_16x16x4_f32 v[90:93], v60, v72, v[90:93]
	;; [unrolled: 1-line block ×9, first 2 shown]
	v_lshlrev_b32_e32 v2, 2, v224
	v_lshlrev_b32_e32 v6, 2, v219
	;; [unrolled: 1-line block ×3, first 2 shown]
	v_mfma_f32_16x16x4_f32 v[30:33], v3, v11, v[30:33]
	v_mfma_f32_16x16x4_f32 v[190:193], v3, v7, v[190:193]
	v_sub_u32_e32 v3, v199, v230
	v_lshlrev_b32_e32 v219, 2, v3
	v_mfma_f32_16x16x4_f32 v[30:33], v4, v12, v[30:33]
	v_mfma_f32_16x16x4_f32 v[190:193], v4, v8, v[190:193]
	v_add3_u32 v4, v218, v227, v2
	v_add3_u32 v2, v227, v210, v2
	;; [unrolled: 1-line block ×4, first 2 shown]
	v_lshl_add_u32 v218, v231, 2, 64
	v_add3_u32 v210, v210, v218, v220
	v_add3_u32 v220, v221, v218, v220
	v_mfma_f32_16x16x4_f32 v[186:189], v5, v13, v[30:33]
	v_add3_u32 v218, v210, v234, v219
	v_add3_u32 v210, v220, v234, v219
	v_mfma_f32_16x16x4_f32 v[190:193], v5, v9, v[190:193]
	ds_read_b128 v[2:5], v206 offset:8192
	ds_read_b128 v[6:9], v207 offset:20480
	;; [unrolled: 1-line block ×6, first 2 shown]
	ds_read_b128 v[58:61], v206
	; sched_group_barrier mask(0x00000100) size(1) SyncID(0)
	; sched_group_barrier mask(0x00000008) size(1) SyncID(0)
	;; [unrolled: 1-line block ×14, first 2 shown]
	; sched_barrier mask(0x00000000)
	s_add_i32 s15, s15, -1
	v_add_u32_e32 v212, 0x100, v212
	v_add_u32_e32 v213, 0x100, v213
	;; [unrolled: 1-line block ×4, first 2 shown]
	s_cmp_lg_u32 s15, 0
	v_add_u32_e32 v216, 0x100, v216
	s_cbranch_scc1 .LBB1_11
; %bb.12:
	s_waitcnt vmcnt(14) lgkmcnt(14)
	v_mfma_f32_16x16x4_f32 v[14:17], v142, v154, v[182:185]
	s_lshl_b64 s[0:1], s[10:11], 2
	v_lshlrev_b32_e32 v0, 3, v0
	s_add_u32 s24, s8, s0
	s_waitcnt vmcnt(5)
	v_and_b32_e32 v52, 24, v0
	s_addc_u32 s25, s9, s1
	s_mul_i32 s0, s12, s21
	s_mul_hi_u32 s1, 0, s21
	v_mfma_f32_16x16x4_f32 v[18:21], v142, v158, v[174:177]
	v_or_b32_e32 v0, s14, v52
	v_lshl_or_b32 v53, s13, 6, v1
	s_add_i32 s2, s1, s0
	v_mad_u64_u32 v[50:51], s[0:1], v53, s21, v[0:1]
	v_lshlrev_b32_e32 v51, 7, v1
	s_waitcnt vmcnt(4)
	v_lshlrev_b32_e32 v54, 2, v194
	v_mfma_f32_16x16x4_f32 v[14:17], v143, v155, v[14:17]
	s_movk_i32 s0, 0xe00
	v_and_or_b32 v51, v51, s0, v54
	s_waitcnt lgkmcnt(0)
	s_barrier
	v_cmp_gt_i32_e32 vcc, s17, v0
	v_cmp_gt_i32_e64 s[6:7], s16, v53
	s_add_i32 s0, s17, s2
	v_mfma_f32_16x16x4_f32 v[18:21], v143, v159, v[18:21]
	s_lshl_b32 s26, s0, 2
	v_bfrev_b32_e32 v55, 1
	s_and_b64 s[0:1], s[6:7], vcc
	v_lshlrev_b32_e32 v54, 2, v50
	s_mov_b32 s27, 0x20000
	v_mfma_f32_16x16x4_f32 v[14:17], v144, v156, v[14:17]
	v_mfma_f32_16x16x4_f32 v[18:21], v144, v160, v[18:21]
	;; [unrolled: 1-line block ×83, first 2 shown]
	s_nop 8
	ds_write2_b32 v51, v17, v21 offset0:96 offset1:112
	ds_write2_b32 v51, v16, v20 offset0:64 offset1:80
	;; [unrolled: 1-line block ×3, first 2 shown]
	ds_write2_b32 v51, v14, v18 offset1:16
	v_lshlrev_b32_e32 v14, 2, v52
	v_lshl_or_b32 v52, v1, 7, v14
	s_waitcnt lgkmcnt(0)
	s_barrier
	ds_read_b64 v[18:19], v52
	v_mfma_f32_16x16x4_f32 v[38:41], v101, v161, v[38:41]
	v_cndmask_b32_e64 v1, v55, 0, s[0:1]
	v_add_u32_e32 v1, v1, v54
	s_waitcnt lgkmcnt(0)
	buffer_atomic_add_f32 v18, v1, s[24:27], 0 offen
	buffer_atomic_add_f32 v19, v1, s[24:27], 4 offen
	v_or_b32_e32 v1, 2, v0
	v_cmp_gt_i32_e64 s[0:1], s17, v1
	s_and_b64 s[2:3], s[6:7], s[0:1]
	v_mfma_f32_16x16x4_f32 v[42:45], v90, v130, v[42:45]
	v_cndmask_b32_e64 v1, v55, 0, s[2:3]
	v_add_u32_e32 v1, v54, v1
	v_mfma_f32_16x16x4_f32 v[46:49], v90, v102, v[46:49]
	v_mfma_f32_16x16x4_f32 v[22:25], v58, v70, v[22:25]
	;; [unrolled: 1-line block ×9, first 2 shown]
	s_nop 3
	v_add_u32_e32 v34, 32, v50
	v_mfma_f32_16x16x4_f32 v[14:17], v60, v32, v[26:29]
	ds_read_b64 v[26:27], v52 offset:8
	s_waitcnt lgkmcnt(0)
	buffer_atomic_add_f32 v26, v1, s[24:27], 0 offen offset:8
	buffer_atomic_add_f32 v27, v1, s[24:27], 4 offen offset:8
	v_or_b32_e32 v1, 4, v0
	v_mfma_f32_16x16x4_f32 v[38:41], v95, v123, v[38:41]
	v_cmp_gt_i32_e64 s[2:3], s17, v1
	s_and_b64 s[4:5], s[6:7], s[2:3]
	v_cndmask_b32_e64 v1, v55, 0, s[4:5]
	v_add_u32_e32 v1, v54, v1
	v_mfma_f32_16x16x4_f32 v[42:45], v92, v132, v[42:45]
	v_mfma_f32_16x16x4_f32 v[46:49], v92, v104, v[46:49]
	;; [unrolled: 1-line block ×4, first 2 shown]
	ds_read_b64 v[10:11], v52 offset:16
	s_waitcnt lgkmcnt(0)
	buffer_atomic_add_f32 v10, v1, s[24:27], 0 offen offset:16
	buffer_atomic_add_f32 v11, v1, s[24:27], 4 offen offset:16
	v_mfma_f32_16x16x4_f32 v[38:41], v96, v124, v[38:41]
	v_or_b32_e32 v1, 6, v0
	ds_read_b64 v[10:11], v52 offset:24
	v_cmp_gt_i32_e64 s[4:5], s17, v1
	s_and_b64 s[8:9], s[6:7], s[4:5]
	v_cndmask_b32_e64 v1, v55, 0, s[8:9]
	v_add_u32_e32 v1, v54, v1
	s_waitcnt lgkmcnt(0)
	buffer_atomic_add_f32 v10, v1, s[24:27], 0 offen offset:24
	buffer_atomic_add_f32 v11, v1, s[24:27], 4 offen offset:24
	v_mfma_f32_16x16x4_f32 v[42:45], v93, v133, v[42:45]
	s_waitcnt lgkmcnt(0)
	s_barrier
	v_or_b32_e32 v1, 32, v0
	v_cmp_gt_i32_e64 s[8:9], s17, v1
	s_and_b64 s[10:11], s[6:7], s[8:9]
	v_cndmask_b32_e64 v1, v55, 0, s[10:11]
	v_lshl_add_u32 v1, v34, 2, v1
	v_mfma_f32_16x16x4_f32 v[46:49], v93, v105, v[46:49]
	v_mfma_f32_16x16x4_f32 v[22:25], v61, v73, v[22:25]
	;; [unrolled: 1-line block ×4, first 2 shown]
	s_nop 8
	ds_write2_b32 v51, v25, v17 offset0:96 offset1:112
	ds_write2_b32 v51, v24, v16 offset0:64 offset1:80
	;; [unrolled: 1-line block ×3, first 2 shown]
	ds_write2_b32 v51, v22, v14 offset1:16
	s_waitcnt lgkmcnt(0)
	s_barrier
	ds_read_b64 v[10:11], v52
	s_waitcnt lgkmcnt(0)
	buffer_atomic_add_f32 v10, v1, s[24:27], 0 offen
	buffer_atomic_add_f32 v11, v1, s[24:27], 4 offen
	v_mfma_f32_16x16x4_f32 v[26:29], v2, v70, v[42:45]
	v_or_b32_e32 v1, 34, v0
	ds_read_b64 v[10:11], v52 offset:8
	v_cmp_gt_i32_e64 s[10:11], s17, v1
	s_and_b64 s[12:13], s[6:7], s[10:11]
	v_cndmask_b32_e64 v1, v55, 0, s[12:13]
	v_add_u32_e32 v1, v54, v1
	s_waitcnt lgkmcnt(0)
	buffer_atomic_add_f32 v10, v1, s[24:27], 0 offen offset:136
	buffer_atomic_add_f32 v11, v1, s[24:27], 4 offen offset:136
	v_mfma_f32_16x16x4_f32 v[22:25], v2, v30, v[46:49]
	v_or_b32_e32 v1, 36, v0
	ds_read_b64 v[10:11], v52 offset:16
	v_cmp_gt_i32_e64 s[12:13], s17, v1
	s_and_b64 s[14:15], s[6:7], s[12:13]
	v_cndmask_b32_e64 v1, v55, 0, s[14:15]
	v_add_u32_e32 v1, v54, v1
	s_waitcnt lgkmcnt(0)
	buffer_atomic_add_f32 v10, v1, s[24:27], 0 offen offset:144
	buffer_atomic_add_f32 v11, v1, s[24:27], 4 offen offset:144
	v_mfma_f32_16x16x4_f32 v[38:41], v90, v126, v[38:41]
	v_or_b32_e32 v10, 38, v0
	ds_read_b64 v[0:1], v52 offset:24
	v_cmp_gt_i32_e64 s[14:15], s17, v10
	s_and_b64 s[6:7], s[6:7], s[14:15]
	v_cndmask_b32_e64 v10, v55, 0, s[6:7]
	v_add_u32_e32 v10, v54, v10
	s_waitcnt lgkmcnt(0)
	buffer_atomic_add_f32 v0, v10, s[24:27], 0 offen offset:152
	v_mfma_f32_16x16x4_f32 v[26:29], v3, v71, v[26:29]
	buffer_atomic_add_f32 v1, v10, s[24:27], 4 offen offset:152
	s_waitcnt lgkmcnt(0)
	s_barrier
	v_or_b32_e32 v10, 32, v53
	v_cmp_gt_i32_e64 s[6:7], s16, v10
	s_lshl_b32 s17, s21, 5
	s_and_b64 s[8:9], s[6:7], s[8:9]
	v_mfma_f32_16x16x4_f32 v[22:25], v3, v31, v[22:25]
	s_and_b64 s[0:1], s[6:7], s[0:1]
	v_mfma_f32_16x16x4_f32 v[38:41], v91, v127, v[38:41]
	v_mfma_f32_16x16x4_f32 v[26:29], v4, v72, v[26:29]
	;; [unrolled: 1-line block ×6, first 2 shown]
	s_nop 9
	ds_write2_b32 v51, v17, v25 offset0:96 offset1:112
	ds_write2_b32 v51, v16, v24 offset0:64 offset1:80
	v_mfma_f32_16x16x4_f32 v[38:41], v93, v129, v[38:41]
	ds_write2_b32 v51, v15, v23 offset0:32 offset1:48
	ds_write2_b32 v51, v14, v22 offset1:16
	s_waitcnt lgkmcnt(0)
	s_barrier
	ds_read_b64 v[0:1], v52
	v_cndmask_b32_e64 v14, v55, 0, s[8:9]
	s_and_b64 s[8:9], s[6:7], s[10:11]
	v_mfma_f32_16x16x4_f32 v[16:19], v4, v12, v[18:21]
	v_add_lshl_u32 v20, v34, s17, 2
	v_add_u32_e32 v14, v20, v14
	s_waitcnt lgkmcnt(0)
	buffer_atomic_add_f32 v0, v14, s[24:27], 0 offen
	buffer_atomic_add_f32 v1, v14, s[24:27], 4 offen
	ds_read_b64 v[0:1], v52 offset:8
	v_mfma_f32_16x16x4_f32 v[10:13], v5, v13, v[16:19]
	s_nop 2
	v_mov_b32_e32 v18, 0x80000008
	v_mfma_f32_16x16x4_f32 v[14:17], v2, v6, v[38:41]
	v_cndmask_b32_e64 v2, v18, 8, s[8:9]
	v_add_u32_e32 v2, v20, v2
	s_waitcnt lgkmcnt(0)
	buffer_atomic_add_f32 v0, v2, s[24:27], 0 offen
	buffer_atomic_add_f32 v1, v2, s[24:27], 4 offen
	ds_read_b64 v[18:19], v52 offset:16
	v_mov_b32_e32 v6, 0x80000010
	s_and_b64 s[8:9], s[6:7], s[12:13]
	v_cndmask_b32_e64 v6, v6, 16, s[8:9]
	v_mfma_f32_16x16x4_f32 v[0:3], v3, v7, v[14:17]
	v_add_u32_e32 v6, v20, v6
	s_waitcnt lgkmcnt(0)
	buffer_atomic_add_f32 v18, v6, s[24:27], 0 offen
	buffer_atomic_add_f32 v19, v6, s[24:27], 4 offen
	ds_read_b64 v[6:7], v52 offset:24
	v_mov_b32_e32 v14, 0x80000018
	s_and_b64 s[8:9], s[6:7], s[14:15]
	v_mfma_f32_16x16x4_f32 v[0:3], v4, v8, v[0:3]
	v_cndmask_b32_e64 v4, v14, 24, s[8:9]
	v_add_u32_e32 v4, v20, v4
	s_waitcnt lgkmcnt(0)
	buffer_atomic_add_f32 v6, v4, s[24:27], 0 offen
	buffer_atomic_add_f32 v7, v4, s[24:27], 4 offen
	s_waitcnt lgkmcnt(0)
	s_barrier
	s_and_b64 s[8:9], vcc, s[6:7]
	v_mfma_f32_16x16x4_f32 v[0:3], v5, v9, v[0:3]
	s_nop 9
	ds_write2_b32 v51, v13, v3 offset0:96 offset1:112
	ds_write2_b32 v51, v12, v2 offset0:64 offset1:80
	;; [unrolled: 1-line block ×3, first 2 shown]
	ds_write2_b32 v51, v10, v0 offset1:16
	s_waitcnt lgkmcnt(0)
	s_barrier
	ds_read_b64 v[0:1], v52
	v_add_lshl_u32 v2, v50, s17, 2
	v_cndmask_b32_e64 v3, v55, 0, s[8:9]
	v_add_u32_e32 v3, v3, v2
	s_waitcnt lgkmcnt(0)
	buffer_atomic_add_f32 v0, v3, s[24:27], 0 offen
	buffer_atomic_add_f32 v1, v3, s[24:27], 4 offen
	ds_read_b64 v[0:1], v52 offset:8
	v_cndmask_b32_e64 v3, v55, 0, s[0:1]
	v_add_u32_e32 v3, v2, v3
	s_waitcnt lgkmcnt(0)
	buffer_atomic_add_f32 v0, v3, s[24:27], 0 offen offset:8
	buffer_atomic_add_f32 v1, v3, s[24:27], 4 offen offset:8
	ds_read_b64 v[0:1], v52 offset:16
	s_and_b64 s[0:1], s[6:7], s[2:3]
	v_cndmask_b32_e64 v3, v55, 0, s[0:1]
	v_add_u32_e32 v3, v2, v3
	s_waitcnt lgkmcnt(0)
	buffer_atomic_add_f32 v0, v3, s[24:27], 0 offen offset:16
	buffer_atomic_add_f32 v1, v3, s[24:27], 4 offen offset:16
	ds_read_b64 v[0:1], v52 offset:24
	s_and_b64 s[0:1], s[6:7], s[4:5]
	v_cndmask_b32_e64 v3, v55, 0, s[0:1]
	v_add_u32_e32 v2, v2, v3
	s_waitcnt lgkmcnt(0)
	buffer_atomic_add_f32 v0, v2, s[24:27], 0 offen offset:24
	buffer_atomic_add_f32 v1, v2, s[24:27], 4 offen offset:24
	s_endpgm
	.section	.rodata,"a",@progbits
	.p2align	6, 0x0
	.amdhsa_kernel _ZN2ck27kernel_gemm_xdl_cshuffle_v3INS_28GridwiseGemm_xdl_cshuffle_v3INS_13tensor_layout4gemm8RowMajorENS3_11ColumnMajorES4_fffffNS_16tensor_operation12element_wise11PassThroughES8_S8_LNS6_6device18GemmSpecializationE0ELi128ELi64ELi64ELi64ELi4ELi4ELi16ELi16ELi2ELi4ENS_8SequenceIJLi4ELi32ELi1EEEENSB_IJLi1ELi0ELi2EEEESD_Li2ELi2ELi2ELb0ELi0ESC_SD_SD_Li2ELi2ELi2ELb0ELi0ELi1ELi2ENSB_IJLi1ELi32ELi1ELi4EEEELi2ELNS_26BlockGemmPipelineSchedulerE0ELNS_24BlockGemmPipelineVersionE2EffLb0ELb0ELb0ELi0ELb0EEELb1ELNS_25InMemoryDataOperationEnumE1ELi2ELNS_10TailNumberE10EEEvNT_8ArgumentE
		.amdhsa_group_segment_fixed_size 32768
		.amdhsa_private_segment_fixed_size 0
		.amdhsa_kernarg_size 112
		.amdhsa_user_sgpr_count 2
		.amdhsa_user_sgpr_dispatch_ptr 0
		.amdhsa_user_sgpr_queue_ptr 0
		.amdhsa_user_sgpr_kernarg_segment_ptr 1
		.amdhsa_user_sgpr_dispatch_id 0
		.amdhsa_user_sgpr_kernarg_preload_length 0
		.amdhsa_user_sgpr_kernarg_preload_offset 0
		.amdhsa_user_sgpr_private_segment_size 0
		.amdhsa_uses_dynamic_stack 0
		.amdhsa_enable_private_segment 0
		.amdhsa_system_sgpr_workgroup_id_x 1
		.amdhsa_system_sgpr_workgroup_id_y 0
		.amdhsa_system_sgpr_workgroup_id_z 1
		.amdhsa_system_sgpr_workgroup_info 0
		.amdhsa_system_vgpr_workitem_id 0
		.amdhsa_next_free_vgpr 235
		.amdhsa_next_free_sgpr 96
		.amdhsa_accum_offset 236
		.amdhsa_reserve_vcc 1
		.amdhsa_float_round_mode_32 0
		.amdhsa_float_round_mode_16_64 0
		.amdhsa_float_denorm_mode_32 3
		.amdhsa_float_denorm_mode_16_64 3
		.amdhsa_dx10_clamp 1
		.amdhsa_ieee_mode 1
		.amdhsa_fp16_overflow 0
		.amdhsa_tg_split 0
		.amdhsa_exception_fp_ieee_invalid_op 0
		.amdhsa_exception_fp_denorm_src 0
		.amdhsa_exception_fp_ieee_div_zero 0
		.amdhsa_exception_fp_ieee_overflow 0
		.amdhsa_exception_fp_ieee_underflow 0
		.amdhsa_exception_fp_ieee_inexact 0
		.amdhsa_exception_int_div_zero 0
	.end_amdhsa_kernel
	.section	.text._ZN2ck27kernel_gemm_xdl_cshuffle_v3INS_28GridwiseGemm_xdl_cshuffle_v3INS_13tensor_layout4gemm8RowMajorENS3_11ColumnMajorES4_fffffNS_16tensor_operation12element_wise11PassThroughES8_S8_LNS6_6device18GemmSpecializationE0ELi128ELi64ELi64ELi64ELi4ELi4ELi16ELi16ELi2ELi4ENS_8SequenceIJLi4ELi32ELi1EEEENSB_IJLi1ELi0ELi2EEEESD_Li2ELi2ELi2ELb0ELi0ESC_SD_SD_Li2ELi2ELi2ELb0ELi0ELi1ELi2ENSB_IJLi1ELi32ELi1ELi4EEEELi2ELNS_26BlockGemmPipelineSchedulerE0ELNS_24BlockGemmPipelineVersionE2EffLb0ELb0ELb0ELi0ELb0EEELb1ELNS_25InMemoryDataOperationEnumE1ELi2ELNS_10TailNumberE10EEEvNT_8ArgumentE,"axG",@progbits,_ZN2ck27kernel_gemm_xdl_cshuffle_v3INS_28GridwiseGemm_xdl_cshuffle_v3INS_13tensor_layout4gemm8RowMajorENS3_11ColumnMajorES4_fffffNS_16tensor_operation12element_wise11PassThroughES8_S8_LNS6_6device18GemmSpecializationE0ELi128ELi64ELi64ELi64ELi4ELi4ELi16ELi16ELi2ELi4ENS_8SequenceIJLi4ELi32ELi1EEEENSB_IJLi1ELi0ELi2EEEESD_Li2ELi2ELi2ELb0ELi0ESC_SD_SD_Li2ELi2ELi2ELb0ELi0ELi1ELi2ENSB_IJLi1ELi32ELi1ELi4EEEELi2ELNS_26BlockGemmPipelineSchedulerE0ELNS_24BlockGemmPipelineVersionE2EffLb0ELb0ELb0ELi0ELb0EEELb1ELNS_25InMemoryDataOperationEnumE1ELi2ELNS_10TailNumberE10EEEvNT_8ArgumentE,comdat
.Lfunc_end1:
	.size	_ZN2ck27kernel_gemm_xdl_cshuffle_v3INS_28GridwiseGemm_xdl_cshuffle_v3INS_13tensor_layout4gemm8RowMajorENS3_11ColumnMajorES4_fffffNS_16tensor_operation12element_wise11PassThroughES8_S8_LNS6_6device18GemmSpecializationE0ELi128ELi64ELi64ELi64ELi4ELi4ELi16ELi16ELi2ELi4ENS_8SequenceIJLi4ELi32ELi1EEEENSB_IJLi1ELi0ELi2EEEESD_Li2ELi2ELi2ELb0ELi0ESC_SD_SD_Li2ELi2ELi2ELb0ELi0ELi1ELi2ENSB_IJLi1ELi32ELi1ELi4EEEELi2ELNS_26BlockGemmPipelineSchedulerE0ELNS_24BlockGemmPipelineVersionE2EffLb0ELb0ELb0ELi0ELb0EEELb1ELNS_25InMemoryDataOperationEnumE1ELi2ELNS_10TailNumberE10EEEvNT_8ArgumentE, .Lfunc_end1-_ZN2ck27kernel_gemm_xdl_cshuffle_v3INS_28GridwiseGemm_xdl_cshuffle_v3INS_13tensor_layout4gemm8RowMajorENS3_11ColumnMajorES4_fffffNS_16tensor_operation12element_wise11PassThroughES8_S8_LNS6_6device18GemmSpecializationE0ELi128ELi64ELi64ELi64ELi4ELi4ELi16ELi16ELi2ELi4ENS_8SequenceIJLi4ELi32ELi1EEEENSB_IJLi1ELi0ELi2EEEESD_Li2ELi2ELi2ELb0ELi0ESC_SD_SD_Li2ELi2ELi2ELb0ELi0ELi1ELi2ENSB_IJLi1ELi32ELi1ELi4EEEELi2ELNS_26BlockGemmPipelineSchedulerE0ELNS_24BlockGemmPipelineVersionE2EffLb0ELb0ELb0ELi0ELb0EEELb1ELNS_25InMemoryDataOperationEnumE1ELi2ELNS_10TailNumberE10EEEvNT_8ArgumentE
                                        ; -- End function
	.set _ZN2ck27kernel_gemm_xdl_cshuffle_v3INS_28GridwiseGemm_xdl_cshuffle_v3INS_13tensor_layout4gemm8RowMajorENS3_11ColumnMajorES4_fffffNS_16tensor_operation12element_wise11PassThroughES8_S8_LNS6_6device18GemmSpecializationE0ELi128ELi64ELi64ELi64ELi4ELi4ELi16ELi16ELi2ELi4ENS_8SequenceIJLi4ELi32ELi1EEEENSB_IJLi1ELi0ELi2EEEESD_Li2ELi2ELi2ELb0ELi0ESC_SD_SD_Li2ELi2ELi2ELb0ELi0ELi1ELi2ENSB_IJLi1ELi32ELi1ELi4EEEELi2ELNS_26BlockGemmPipelineSchedulerE0ELNS_24BlockGemmPipelineVersionE2EffLb0ELb0ELb0ELi0ELb0EEELb1ELNS_25InMemoryDataOperationEnumE1ELi2ELNS_10TailNumberE10EEEvNT_8ArgumentE.num_vgpr, 235
	.set _ZN2ck27kernel_gemm_xdl_cshuffle_v3INS_28GridwiseGemm_xdl_cshuffle_v3INS_13tensor_layout4gemm8RowMajorENS3_11ColumnMajorES4_fffffNS_16tensor_operation12element_wise11PassThroughES8_S8_LNS6_6device18GemmSpecializationE0ELi128ELi64ELi64ELi64ELi4ELi4ELi16ELi16ELi2ELi4ENS_8SequenceIJLi4ELi32ELi1EEEENSB_IJLi1ELi0ELi2EEEESD_Li2ELi2ELi2ELb0ELi0ESC_SD_SD_Li2ELi2ELi2ELb0ELi0ELi1ELi2ENSB_IJLi1ELi32ELi1ELi4EEEELi2ELNS_26BlockGemmPipelineSchedulerE0ELNS_24BlockGemmPipelineVersionE2EffLb0ELb0ELb0ELi0ELb0EEELb1ELNS_25InMemoryDataOperationEnumE1ELi2ELNS_10TailNumberE10EEEvNT_8ArgumentE.num_agpr, 0
	.set _ZN2ck27kernel_gemm_xdl_cshuffle_v3INS_28GridwiseGemm_xdl_cshuffle_v3INS_13tensor_layout4gemm8RowMajorENS3_11ColumnMajorES4_fffffNS_16tensor_operation12element_wise11PassThroughES8_S8_LNS6_6device18GemmSpecializationE0ELi128ELi64ELi64ELi64ELi4ELi4ELi16ELi16ELi2ELi4ENS_8SequenceIJLi4ELi32ELi1EEEENSB_IJLi1ELi0ELi2EEEESD_Li2ELi2ELi2ELb0ELi0ESC_SD_SD_Li2ELi2ELi2ELb0ELi0ELi1ELi2ENSB_IJLi1ELi32ELi1ELi4EEEELi2ELNS_26BlockGemmPipelineSchedulerE0ELNS_24BlockGemmPipelineVersionE2EffLb0ELb0ELb0ELi0ELb0EEELb1ELNS_25InMemoryDataOperationEnumE1ELi2ELNS_10TailNumberE10EEEvNT_8ArgumentE.numbered_sgpr, 29
	.set _ZN2ck27kernel_gemm_xdl_cshuffle_v3INS_28GridwiseGemm_xdl_cshuffle_v3INS_13tensor_layout4gemm8RowMajorENS3_11ColumnMajorES4_fffffNS_16tensor_operation12element_wise11PassThroughES8_S8_LNS6_6device18GemmSpecializationE0ELi128ELi64ELi64ELi64ELi4ELi4ELi16ELi16ELi2ELi4ENS_8SequenceIJLi4ELi32ELi1EEEENSB_IJLi1ELi0ELi2EEEESD_Li2ELi2ELi2ELb0ELi0ESC_SD_SD_Li2ELi2ELi2ELb0ELi0ELi1ELi2ENSB_IJLi1ELi32ELi1ELi4EEEELi2ELNS_26BlockGemmPipelineSchedulerE0ELNS_24BlockGemmPipelineVersionE2EffLb0ELb0ELb0ELi0ELb0EEELb1ELNS_25InMemoryDataOperationEnumE1ELi2ELNS_10TailNumberE10EEEvNT_8ArgumentE.num_named_barrier, 0
	.set _ZN2ck27kernel_gemm_xdl_cshuffle_v3INS_28GridwiseGemm_xdl_cshuffle_v3INS_13tensor_layout4gemm8RowMajorENS3_11ColumnMajorES4_fffffNS_16tensor_operation12element_wise11PassThroughES8_S8_LNS6_6device18GemmSpecializationE0ELi128ELi64ELi64ELi64ELi4ELi4ELi16ELi16ELi2ELi4ENS_8SequenceIJLi4ELi32ELi1EEEENSB_IJLi1ELi0ELi2EEEESD_Li2ELi2ELi2ELb0ELi0ESC_SD_SD_Li2ELi2ELi2ELb0ELi0ELi1ELi2ENSB_IJLi1ELi32ELi1ELi4EEEELi2ELNS_26BlockGemmPipelineSchedulerE0ELNS_24BlockGemmPipelineVersionE2EffLb0ELb0ELb0ELi0ELb0EEELb1ELNS_25InMemoryDataOperationEnumE1ELi2ELNS_10TailNumberE10EEEvNT_8ArgumentE.private_seg_size, 0
	.set _ZN2ck27kernel_gemm_xdl_cshuffle_v3INS_28GridwiseGemm_xdl_cshuffle_v3INS_13tensor_layout4gemm8RowMajorENS3_11ColumnMajorES4_fffffNS_16tensor_operation12element_wise11PassThroughES8_S8_LNS6_6device18GemmSpecializationE0ELi128ELi64ELi64ELi64ELi4ELi4ELi16ELi16ELi2ELi4ENS_8SequenceIJLi4ELi32ELi1EEEENSB_IJLi1ELi0ELi2EEEESD_Li2ELi2ELi2ELb0ELi0ESC_SD_SD_Li2ELi2ELi2ELb0ELi0ELi1ELi2ENSB_IJLi1ELi32ELi1ELi4EEEELi2ELNS_26BlockGemmPipelineSchedulerE0ELNS_24BlockGemmPipelineVersionE2EffLb0ELb0ELb0ELi0ELb0EEELb1ELNS_25InMemoryDataOperationEnumE1ELi2ELNS_10TailNumberE10EEEvNT_8ArgumentE.uses_vcc, 1
	.set _ZN2ck27kernel_gemm_xdl_cshuffle_v3INS_28GridwiseGemm_xdl_cshuffle_v3INS_13tensor_layout4gemm8RowMajorENS3_11ColumnMajorES4_fffffNS_16tensor_operation12element_wise11PassThroughES8_S8_LNS6_6device18GemmSpecializationE0ELi128ELi64ELi64ELi64ELi4ELi4ELi16ELi16ELi2ELi4ENS_8SequenceIJLi4ELi32ELi1EEEENSB_IJLi1ELi0ELi2EEEESD_Li2ELi2ELi2ELb0ELi0ESC_SD_SD_Li2ELi2ELi2ELb0ELi0ELi1ELi2ENSB_IJLi1ELi32ELi1ELi4EEEELi2ELNS_26BlockGemmPipelineSchedulerE0ELNS_24BlockGemmPipelineVersionE2EffLb0ELb0ELb0ELi0ELb0EEELb1ELNS_25InMemoryDataOperationEnumE1ELi2ELNS_10TailNumberE10EEEvNT_8ArgumentE.uses_flat_scratch, 0
	.set _ZN2ck27kernel_gemm_xdl_cshuffle_v3INS_28GridwiseGemm_xdl_cshuffle_v3INS_13tensor_layout4gemm8RowMajorENS3_11ColumnMajorES4_fffffNS_16tensor_operation12element_wise11PassThroughES8_S8_LNS6_6device18GemmSpecializationE0ELi128ELi64ELi64ELi64ELi4ELi4ELi16ELi16ELi2ELi4ENS_8SequenceIJLi4ELi32ELi1EEEENSB_IJLi1ELi0ELi2EEEESD_Li2ELi2ELi2ELb0ELi0ESC_SD_SD_Li2ELi2ELi2ELb0ELi0ELi1ELi2ENSB_IJLi1ELi32ELi1ELi4EEEELi2ELNS_26BlockGemmPipelineSchedulerE0ELNS_24BlockGemmPipelineVersionE2EffLb0ELb0ELb0ELi0ELb0EEELb1ELNS_25InMemoryDataOperationEnumE1ELi2ELNS_10TailNumberE10EEEvNT_8ArgumentE.has_dyn_sized_stack, 0
	.set _ZN2ck27kernel_gemm_xdl_cshuffle_v3INS_28GridwiseGemm_xdl_cshuffle_v3INS_13tensor_layout4gemm8RowMajorENS3_11ColumnMajorES4_fffffNS_16tensor_operation12element_wise11PassThroughES8_S8_LNS6_6device18GemmSpecializationE0ELi128ELi64ELi64ELi64ELi4ELi4ELi16ELi16ELi2ELi4ENS_8SequenceIJLi4ELi32ELi1EEEENSB_IJLi1ELi0ELi2EEEESD_Li2ELi2ELi2ELb0ELi0ESC_SD_SD_Li2ELi2ELi2ELb0ELi0ELi1ELi2ENSB_IJLi1ELi32ELi1ELi4EEEELi2ELNS_26BlockGemmPipelineSchedulerE0ELNS_24BlockGemmPipelineVersionE2EffLb0ELb0ELb0ELi0ELb0EEELb1ELNS_25InMemoryDataOperationEnumE1ELi2ELNS_10TailNumberE10EEEvNT_8ArgumentE.has_recursion, 0
	.set _ZN2ck27kernel_gemm_xdl_cshuffle_v3INS_28GridwiseGemm_xdl_cshuffle_v3INS_13tensor_layout4gemm8RowMajorENS3_11ColumnMajorES4_fffffNS_16tensor_operation12element_wise11PassThroughES8_S8_LNS6_6device18GemmSpecializationE0ELi128ELi64ELi64ELi64ELi4ELi4ELi16ELi16ELi2ELi4ENS_8SequenceIJLi4ELi32ELi1EEEENSB_IJLi1ELi0ELi2EEEESD_Li2ELi2ELi2ELb0ELi0ESC_SD_SD_Li2ELi2ELi2ELb0ELi0ELi1ELi2ENSB_IJLi1ELi32ELi1ELi4EEEELi2ELNS_26BlockGemmPipelineSchedulerE0ELNS_24BlockGemmPipelineVersionE2EffLb0ELb0ELb0ELi0ELb0EEELb1ELNS_25InMemoryDataOperationEnumE1ELi2ELNS_10TailNumberE10EEEvNT_8ArgumentE.has_indirect_call, 0
	.section	.AMDGPU.csdata,"",@progbits
; Kernel info:
; codeLenInByte = 6564
; TotalNumSgprs: 35
; NumVgprs: 235
; NumAgprs: 0
; TotalNumVgprs: 235
; ScratchSize: 0
; MemoryBound: 0
; FloatMode: 240
; IeeeMode: 1
; LDSByteSize: 32768 bytes/workgroup (compile time only)
; SGPRBlocks: 12
; VGPRBlocks: 29
; NumSGPRsForWavesPerEU: 102
; NumVGPRsForWavesPerEU: 235
; AccumOffset: 236
; Occupancy: 2
; WaveLimiterHint : 0
; COMPUTE_PGM_RSRC2:SCRATCH_EN: 0
; COMPUTE_PGM_RSRC2:USER_SGPR: 2
; COMPUTE_PGM_RSRC2:TRAP_HANDLER: 0
; COMPUTE_PGM_RSRC2:TGID_X_EN: 1
; COMPUTE_PGM_RSRC2:TGID_Y_EN: 0
; COMPUTE_PGM_RSRC2:TGID_Z_EN: 1
; COMPUTE_PGM_RSRC2:TIDIG_COMP_CNT: 0
; COMPUTE_PGM_RSRC3_GFX90A:ACCUM_OFFSET: 58
; COMPUTE_PGM_RSRC3_GFX90A:TG_SPLIT: 0
	.section	.text._ZN2ck27kernel_gemm_xdl_cshuffle_v3INS_28GridwiseGemm_xdl_cshuffle_v3INS_13tensor_layout4gemm8RowMajorENS3_11ColumnMajorES4_fffffNS_16tensor_operation12element_wise11PassThroughES8_S8_LNS6_6device18GemmSpecializationE0ELi128ELi64ELi64ELi64ELi4ELi4ELi16ELi16ELi2ELi4ENS_8SequenceIJLi4ELi32ELi1EEEENSB_IJLi1ELi0ELi2EEEESD_Li2ELi2ELi2ELb0ELi0ESC_SD_SD_Li2ELi2ELi2ELb0ELi0ELi1ELi2ENSB_IJLi1ELi32ELi1ELi4EEEELi2ELNS_26BlockGemmPipelineSchedulerE0ELNS_24BlockGemmPipelineVersionE2EffLb0ELb0ELb0ELi0ELb0EEELb1ELNS_25InMemoryDataOperationEnumE0ELi2ELNS_10TailNumberE10EEEvNT_8ArgumentE,"axG",@progbits,_ZN2ck27kernel_gemm_xdl_cshuffle_v3INS_28GridwiseGemm_xdl_cshuffle_v3INS_13tensor_layout4gemm8RowMajorENS3_11ColumnMajorES4_fffffNS_16tensor_operation12element_wise11PassThroughES8_S8_LNS6_6device18GemmSpecializationE0ELi128ELi64ELi64ELi64ELi4ELi4ELi16ELi16ELi2ELi4ENS_8SequenceIJLi4ELi32ELi1EEEENSB_IJLi1ELi0ELi2EEEESD_Li2ELi2ELi2ELb0ELi0ESC_SD_SD_Li2ELi2ELi2ELb0ELi0ELi1ELi2ENSB_IJLi1ELi32ELi1ELi4EEEELi2ELNS_26BlockGemmPipelineSchedulerE0ELNS_24BlockGemmPipelineVersionE2EffLb0ELb0ELb0ELi0ELb0EEELb1ELNS_25InMemoryDataOperationEnumE0ELi2ELNS_10TailNumberE10EEEvNT_8ArgumentE,comdat
	.protected	_ZN2ck27kernel_gemm_xdl_cshuffle_v3INS_28GridwiseGemm_xdl_cshuffle_v3INS_13tensor_layout4gemm8RowMajorENS3_11ColumnMajorES4_fffffNS_16tensor_operation12element_wise11PassThroughES8_S8_LNS6_6device18GemmSpecializationE0ELi128ELi64ELi64ELi64ELi4ELi4ELi16ELi16ELi2ELi4ENS_8SequenceIJLi4ELi32ELi1EEEENSB_IJLi1ELi0ELi2EEEESD_Li2ELi2ELi2ELb0ELi0ESC_SD_SD_Li2ELi2ELi2ELb0ELi0ELi1ELi2ENSB_IJLi1ELi32ELi1ELi4EEEELi2ELNS_26BlockGemmPipelineSchedulerE0ELNS_24BlockGemmPipelineVersionE2EffLb0ELb0ELb0ELi0ELb0EEELb1ELNS_25InMemoryDataOperationEnumE0ELi2ELNS_10TailNumberE10EEEvNT_8ArgumentE ; -- Begin function _ZN2ck27kernel_gemm_xdl_cshuffle_v3INS_28GridwiseGemm_xdl_cshuffle_v3INS_13tensor_layout4gemm8RowMajorENS3_11ColumnMajorES4_fffffNS_16tensor_operation12element_wise11PassThroughES8_S8_LNS6_6device18GemmSpecializationE0ELi128ELi64ELi64ELi64ELi4ELi4ELi16ELi16ELi2ELi4ENS_8SequenceIJLi4ELi32ELi1EEEENSB_IJLi1ELi0ELi2EEEESD_Li2ELi2ELi2ELb0ELi0ESC_SD_SD_Li2ELi2ELi2ELb0ELi0ELi1ELi2ENSB_IJLi1ELi32ELi1ELi4EEEELi2ELNS_26BlockGemmPipelineSchedulerE0ELNS_24BlockGemmPipelineVersionE2EffLb0ELb0ELb0ELi0ELb0EEELb1ELNS_25InMemoryDataOperationEnumE0ELi2ELNS_10TailNumberE10EEEvNT_8ArgumentE
	.globl	_ZN2ck27kernel_gemm_xdl_cshuffle_v3INS_28GridwiseGemm_xdl_cshuffle_v3INS_13tensor_layout4gemm8RowMajorENS3_11ColumnMajorES4_fffffNS_16tensor_operation12element_wise11PassThroughES8_S8_LNS6_6device18GemmSpecializationE0ELi128ELi64ELi64ELi64ELi4ELi4ELi16ELi16ELi2ELi4ENS_8SequenceIJLi4ELi32ELi1EEEENSB_IJLi1ELi0ELi2EEEESD_Li2ELi2ELi2ELb0ELi0ESC_SD_SD_Li2ELi2ELi2ELb0ELi0ELi1ELi2ENSB_IJLi1ELi32ELi1ELi4EEEELi2ELNS_26BlockGemmPipelineSchedulerE0ELNS_24BlockGemmPipelineVersionE2EffLb0ELb0ELb0ELi0ELb0EEELb1ELNS_25InMemoryDataOperationEnumE0ELi2ELNS_10TailNumberE10EEEvNT_8ArgumentE
	.p2align	8
	.type	_ZN2ck27kernel_gemm_xdl_cshuffle_v3INS_28GridwiseGemm_xdl_cshuffle_v3INS_13tensor_layout4gemm8RowMajorENS3_11ColumnMajorES4_fffffNS_16tensor_operation12element_wise11PassThroughES8_S8_LNS6_6device18GemmSpecializationE0ELi128ELi64ELi64ELi64ELi4ELi4ELi16ELi16ELi2ELi4ENS_8SequenceIJLi4ELi32ELi1EEEENSB_IJLi1ELi0ELi2EEEESD_Li2ELi2ELi2ELb0ELi0ESC_SD_SD_Li2ELi2ELi2ELb0ELi0ELi1ELi2ENSB_IJLi1ELi32ELi1ELi4EEEELi2ELNS_26BlockGemmPipelineSchedulerE0ELNS_24BlockGemmPipelineVersionE2EffLb0ELb0ELb0ELi0ELb0EEELb1ELNS_25InMemoryDataOperationEnumE0ELi2ELNS_10TailNumberE10EEEvNT_8ArgumentE,@function
_ZN2ck27kernel_gemm_xdl_cshuffle_v3INS_28GridwiseGemm_xdl_cshuffle_v3INS_13tensor_layout4gemm8RowMajorENS3_11ColumnMajorES4_fffffNS_16tensor_operation12element_wise11PassThroughES8_S8_LNS6_6device18GemmSpecializationE0ELi128ELi64ELi64ELi64ELi4ELi4ELi16ELi16ELi2ELi4ENS_8SequenceIJLi4ELi32ELi1EEEENSB_IJLi1ELi0ELi2EEEESD_Li2ELi2ELi2ELb0ELi0ESC_SD_SD_Li2ELi2ELi2ELb0ELi0ELi1ELi2ENSB_IJLi1ELi32ELi1ELi4EEEELi2ELNS_26BlockGemmPipelineSchedulerE0ELNS_24BlockGemmPipelineVersionE2EffLb0ELb0ELb0ELi0ELb0EEELb1ELNS_25InMemoryDataOperationEnumE0ELi2ELNS_10TailNumberE10EEEvNT_8ArgumentE: ; @_ZN2ck27kernel_gemm_xdl_cshuffle_v3INS_28GridwiseGemm_xdl_cshuffle_v3INS_13tensor_layout4gemm8RowMajorENS3_11ColumnMajorES4_fffffNS_16tensor_operation12element_wise11PassThroughES8_S8_LNS6_6device18GemmSpecializationE0ELi128ELi64ELi64ELi64ELi4ELi4ELi16ELi16ELi2ELi4ENS_8SequenceIJLi4ELi32ELi1EEEENSB_IJLi1ELi0ELi2EEEESD_Li2ELi2ELi2ELb0ELi0ESC_SD_SD_Li2ELi2ELi2ELb0ELi0ELi1ELi2ENSB_IJLi1ELi32ELi1ELi4EEEELi2ELNS_26BlockGemmPipelineSchedulerE0ELNS_24BlockGemmPipelineVersionE2EffLb0ELb0ELb0ELi0ELb0EEELb1ELNS_25InMemoryDataOperationEnumE0ELi2ELNS_10TailNumberE10EEEvNT_8ArgumentE
; %bb.0:
	s_load_dwordx8 s[16:23], s[0:1], 0x10
	s_load_dwordx2 s[8:9], s[0:1], 0x60
	s_load_dword s12, s[0:1], 0x68
	s_load_dword s15, s[0:1], 0x3c
	s_load_dwordx4 s[4:7], s[0:1], 0x50
	s_waitcnt lgkmcnt(0)
	s_cmp_gt_i32 s22, 1
	s_cselect_b64 s[10:11], -1, 0
	s_bitcmp1_b32 s12, 0
	s_cselect_b64 s[12:13], -1, 0
	s_and_b64 s[10:11], s[10:11], s[12:13]
	s_andn2_b64 vcc, exec, s[10:11]
	s_mov_b64 s[10:11], 0
	s_cbranch_vccnz .LBB2_2
; %bb.1:
	s_mul_i32 s10, s16, s3
	s_mul_i32 s10, s10, s17
	s_ashr_i32 s11, s10, 31
.LBB2_2:
	s_load_dword s14, s[0:1], 0x34
	s_add_i32 s12, s16, -1
	s_cmp_lt_u32 s12, 64
	s_mov_b32 s13, 0
	s_cbranch_scc1 .LBB2_10
; %bb.3:
	s_add_i32 s0, s17, -1
	s_cmp_lt_u32 s0, 64
	s_mov_b32 s0, 0
	s_cbranch_scc1 .LBB2_9
; %bb.4:
	s_add_i32 s0, s16, 63
	s_ashr_i32 s1, s0, 31
	s_lshr_b32 s1, s1, 26
	s_add_i32 s0, s0, s1
	s_ashr_i32 s23, s0, 6
	s_add_i32 s0, s17, 63
	s_ashr_i32 s1, s0, 31
	s_lshr_b32 s1, s1, 26
	s_add_i32 s0, s0, s1
	s_ashr_i32 s13, s0, 6
	s_mul_i32 s0, s13, s23
	s_add_i32 s1, s0, 7
	s_ashr_i32 s24, s1, 31
	s_lshr_b32 s24, s24, 29
	s_add_i32 s1, s1, s24
	s_ashr_i32 s24, s1, 3
	s_and_b32 s1, s1, -8
	s_sub_i32 s25, s0, s1
	s_ashr_i32 s0, s2, 31
	s_lshr_b32 s0, s0, 29
	s_add_i32 s27, s2, s0
	s_and_b32 s0, s27, -8
	s_add_i32 s25, s25, 8
	s_sub_i32 s26, s2, s0
	s_cmp_gt_i32 s26, s25
	s_cbranch_scc1 .LBB2_6
; %bb.5:
	s_mul_i32 s2, s24, s26
	s_ashr_i32 s0, s27, 3
	s_cbranch_execz .LBB2_7
	s_branch .LBB2_8
.LBB2_6:
                                        ; implicit-def: $sgpr2
	s_ashr_i32 s0, s27, 3
.LBB2_7:
	s_add_i32 s1, s24, -1
	s_mul_i32 s1, s1, s26
	s_add_i32 s2, s25, s1
.LBB2_8:
	s_abs_i32 s1, s13
	v_cvt_f32_u32_e32 v1, s1
	s_sub_i32 s25, 0, s1
	s_add_i32 s0, s2, s0
	s_abs_i32 s24, s0
	v_rcp_iflag_f32_e32 v1, v1
	s_xor_b32 s2, s0, s13
	s_ashr_i32 s2, s2, 31
	v_mul_f32_e32 v1, 0x4f7ffffe, v1
	v_cvt_u32_f32_e32 v1, v1
	s_nop 0
	v_readfirstlane_b32 s26, v1
	s_mul_i32 s25, s25, s26
	s_mul_hi_u32 s25, s26, s25
	s_add_i32 s26, s26, s25
	s_mul_hi_u32 s25, s24, s26
	s_mul_i32 s26, s25, s1
	s_sub_i32 s24, s24, s26
	s_add_i32 s27, s25, 1
	s_sub_i32 s26, s24, s1
	s_cmp_ge_u32 s24, s1
	s_cselect_b32 s25, s27, s25
	s_cselect_b32 s24, s26, s24
	s_add_i32 s26, s25, 1
	s_cmp_ge_u32 s24, s1
	s_cselect_b32 s1, s26, s25
	s_xor_b32 s1, s1, s2
	s_lshr_b32 s24, s23, 30
	s_sub_i32 s1, s1, s2
	s_add_i32 s24, s23, s24
	s_mul_i32 s2, s1, s13
	s_sub_i32 s0, s0, s2
	s_and_b32 s2, s24, -4
	s_sub_i32 s23, s23, s2
	s_cmp_ge_i32 s1, s2
	s_cselect_b32 s2, s23, 4
	s_abs_i32 s24, s2
	v_cvt_f32_u32_e32 v1, s24
	s_ashr_i32 s23, s1, 31
	s_lshr_b32 s23, s23, 30
	s_add_i32 s23, s1, s23
	v_rcp_iflag_f32_e32 v1, v1
	s_and_b32 s23, s23, -4
	s_sub_i32 s23, s1, s23
	s_sub_i32 s26, 0, s24
	v_mul_f32_e32 v1, 0x4f7ffffe, v1
	v_cvt_u32_f32_e32 v1, v1
	s_mul_i32 s13, s23, s13
	s_add_i32 s13, s13, s0
	s_abs_i32 s25, s13
	v_readfirstlane_b32 s27, v1
	s_mul_i32 s26, s26, s27
	s_mul_hi_u32 s26, s27, s26
	s_add_i32 s27, s27, s26
	s_mul_hi_u32 s26, s25, s27
	s_mul_i32 s27, s26, s24
	s_xor_b32 s0, s13, s2
	s_sub_i32 s25, s25, s27
	s_ashr_i32 s0, s0, 31
	s_add_i32 s27, s26, 1
	s_sub_i32 s28, s25, s24
	s_cmp_ge_u32 s25, s24
	s_cselect_b32 s26, s27, s26
	s_cselect_b32 s25, s28, s25
	s_add_i32 s27, s26, 1
	s_cmp_ge_u32 s25, s24
	s_cselect_b32 s24, s27, s26
	s_xor_b32 s24, s24, s0
	s_sub_i32 s0, s24, s0
	s_mul_i32 s2, s0, s2
	s_sub_i32 s2, s13, s2
	s_add_i32 s2, s2, s1
	s_sub_i32 s2, s2, s23
.LBB2_9:
	s_mov_b32 s13, s2
	s_mov_b32 s2, s0
.LBB2_10:
	s_waitcnt lgkmcnt(0)
	s_mul_i32 s0, s14, s3
	s_ashr_i32 s1, s0, 31
	s_lshl_b64 s[24:25], s[0:1], 2
	s_add_u32 s0, s4, s24
	s_addc_u32 s1, s5, s25
	s_add_u32 s4, s6, s24
	s_addc_u32 s5, s7, s25
	s_add_i32 s22, s22, -1
	s_mul_i32 s23, s22, s14
	v_lshrrev_b32_e32 v163, 1, v0
	s_add_i32 s7, s17, 0x3fffffff
	s_sub_i32 s18, s18, s23
	v_lshlrev_b32_e32 v1, 2, v0
	v_and_b32_e32 v164, 62, v163
	s_cmp_lt_u32 s3, s22
	v_and_b32_e32 v195, 12, v1
	v_lshl_or_b32 v1, s13, 6, v164
	s_cselect_b32 s18, s14, s18
	s_lshl_b32 s14, s2, 6
	v_mul_lo_u32 v162, v1, s19
	v_bitop3_b32 v199, v163, v195, 14 bitop3:0x6c
	v_lshlrev_b32_e32 v1, 6, v164
	s_ashr_i32 s2, s15, 31
	v_lshl_or_b32 v15, v199, 2, v1
	v_or_b32_e32 v1, s14, v164
	s_lshr_b32 s2, s2, 28
	v_lshlrev_b32_e32 v2, 2, v195
	v_mul_lo_u32 v165, v1, s20
	v_and_b32_e32 v194, 15, v0
	v_lshrrev_b32_e32 v1, 2, v0
	s_add_i32 s15, s15, s2
	s_mul_i32 s6, s12, s19
	s_mul_i32 s7, s7, s20
	v_add_u32_e32 v14, v162, v2
	v_and_b32_e32 v126, 14, v163
	v_add_u32_e32 v54, v165, v2
	v_and_or_b32 v127, v1, 16, v194
	v_and_b32_e32 v166, 12, v1
	v_bitop3_b32 v167, v1, v194, 12 bitop3:0x6c
	s_ashr_i32 s15, s15, 4
	; sched_barrier mask(0x00000000)
	v_add_u32_e32 v16, 12, v14
	s_add_i32 s2, s18, s6
	v_add_lshl_u32 v17, v16, s19, 2
	s_lshl_b32 s2, s2, 2
	s_and_b32 s1, s1, 0xffff
	s_mov_b32 s3, 0x20000
	v_lshlrev_b32_e32 v34, 2, v14
	v_subrev_u32_e32 v8, 40, v17
	buffer_load_dwordx4 v[2:5], v34, s[0:3], 0 offen
	v_subrev_u32_e32 v6, 32, v17
	v_subrev_u32_e32 v7, 24, v17
	v_add_lshl_u32 v9, v14, s19, 2
	buffer_load_dwordx2 v[12:13], v8, s[0:3], 0 offen
	buffer_load_dwordx2 v[10:11], v9, s[0:3], 0 offen
	;; [unrolled: 1-line block ×4, first 2 shown]
	buffer_load_dwordx4 v[24:27], v34, s[0:3], 0 offen offset:16
	v_add_u32_e32 v18, -8, v17
	v_add_u32_e32 v19, -16, v17
	buffer_load_dwordx2 v[6:7], v18, s[0:3], 0 offen
	buffer_load_dwordx2 v[8:9], v19, s[0:3], 0 offen
	v_add_u32_e32 v18, 12, v54
	s_add_i32 s18, s18, s7
	v_bitop3_b32 v21, v126, v195, 1 bitop3:0x14
	v_bitop3_b32 v22, v195, v126, 1 bitop3:0x36
	;; [unrolled: 1-line block ×3, first 2 shown]
	v_add_u32_e32 v35, 0x4c, v14
	v_lshlrev_b32_e32 v14, 2, v16
	v_lshlrev_b32_e32 v16, 2, v18
	v_add_lshl_u32 v18, v18, s20, 2
	s_and_b32 s5, s5, 0xffff
	v_bitop3_b32 v20, v126, v195, 1 bitop3:0x36
	s_lshl_b32 s6, s18, 2
	s_mov_b32 s7, s3
	v_sub_u32_e32 v33, v22, v21
	v_sub_u32_e32 v36, v130, v22
	v_subrev_u32_e32 v22, 40, v18
	v_lshlrev_b32_e32 v55, 2, v54
	v_add_lshl_u32 v19, v54, s20, 2
	v_sub_u32_e32 v23, v20, v199
	v_sub_u32_e32 v32, v21, v20
	buffer_load_dwordx4 v[58:61], v34, s[0:3], 0 offen offset:32
	buffer_load_dwordx2 v[110:111], v34, s[0:3], 0 offen offset:56
	buffer_load_dwordx2 v[112:113], v14, s[0:3], 0 offen
	buffer_load_dwordx4 v[78:81], v17, s[0:3], 0 offen
	buffer_load_dwordx4 v[90:93], v55, s[4:7], 0 offen
	v_add_u32_e32 v14, -8, v18
	v_add_u32_e32 v17, -16, v18
	v_subrev_u32_e32 v20, 32, v18
	v_subrev_u32_e32 v21, 24, v18
	buffer_load_dwordx2 v[96:97], v22, s[4:7], 0 offen
	buffer_load_dwordx2 v[94:95], v19, s[4:7], 0 offen
	;; [unrolled: 1-line block ×6, first 2 shown]
	buffer_load_dwordx4 v[98:101], v55, s[4:7], 0 offen offset:16
	buffer_load_dwordx4 v[102:105], v55, s[4:7], 0 offen offset:32
	buffer_load_dwordx2 v[122:123], v55, s[4:7], 0 offen offset:56
	buffer_load_dwordx2 v[124:125], v16, s[4:7], 0 offen
	buffer_load_dwordx4 v[106:109], v18, s[4:7], 0 offen
	v_lshlrev_b32_e32 v128, 2, v15
	v_lshl_add_u32 v131, v23, 4, v128
	v_lshlrev_b32_e32 v22, 2, v35
	v_lshl_add_u32 v23, v23, 2, v15
	v_lshl_add_u32 v132, v32, 4, v131
	buffer_load_dwordx4 v[18:21], v34, s[0:3], 0 offen offset:256
	buffer_load_dwordx4 v[14:17], v34, s[0:3], 0 offen offset:272
	v_lshl_add_u32 v32, v32, 2, v23
	buffer_load_dwordx2 v[22:23], v22, s[0:3], 0 offen
	v_lshl_add_u32 v133, v33, 4, v132
	v_lshl_add_u32 v32, v33, 2, v32
	;; [unrolled: 1-line block ×4, first 2 shown]
	v_or_b32_e32 v129, 1, v126
	v_or_b32_e32 v198, 3, v195
	v_bitop3_b32 v169, v195, v126, 3 bitop3:0x36
	v_or_b32_e32 v196, 1, v195
	v_or_b32_e32 v197, 2, v195
	s_mov_b32 s23, s6
	s_waitcnt vmcnt(26)
	ds_write_b128 v128, v[2:5]
	s_waitcnt vmcnt(24)
	ds_write_b128 v131, v[10:13] offset:256
	s_waitcnt vmcnt(22)
	ds_write2_b64 v132, v[28:29], v[30:31] offset0:32 offset1:33
	s_waitcnt vmcnt(21)
	ds_write2_b64 v133, v[24:25], v[26:27] offset1:1
	v_add_lshl_u32 v2, v35, s19, 2
	v_add_u32_e32 v3, -8, v2
	buffer_load_dwordx4 v[30:33], v34, s[0:3], 0 offen offset:288
	buffer_load_dwordx2 v[24:25], v34, s[0:3], 0 offen offset:312
	buffer_load_dwordx4 v[42:45], v2, s[0:3], 0 offen
	buffer_load_dwordx2 v[36:37], v3, s[0:3], 0 offen
	v_add_u32_e32 v3, -16, v2
	v_subrev_u32_e32 v4, 32, v2
	v_subrev_u32_e32 v5, 24, v2
	;; [unrolled: 1-line block ×4, first 2 shown]
	buffer_load_dwordx2 v[34:35], v3, s[0:3], 0 offen
	buffer_load_dwordx2 v[62:63], v4, s[0:3], 0 offen
	;; [unrolled: 1-line block ×5, first 2 shown]
	buffer_load_dwordx4 v[38:41], v55, s[4:7], 0 offen offset:256
	buffer_load_dwordx4 v[46:49], v55, s[4:7], 0 offen offset:272
	;; [unrolled: 1-line block ×3, first 2 shown]
	buffer_load_dwordx2 v[56:57], v55, s[4:7], 0 offen offset:312
	v_add_u32_e32 v2, 0x4c, v54
	v_lshlrev_b32_e32 v3, 2, v2
	v_add_lshl_u32 v2, v2, s20, 2
	buffer_load_dwordx2 v[54:55], v3, s[4:7], 0 offen
	v_add_u32_e32 v3, -8, v2
	buffer_load_dwordx4 v[74:77], v2, s[4:7], 0 offen
	buffer_load_dwordx2 v[72:73], v3, s[4:7], 0 offen
	v_add_u32_e32 v3, -16, v2
	v_subrev_u32_e32 v4, 32, v2
	v_subrev_u32_e32 v5, 24, v2
	;; [unrolled: 1-line block ×3, first 2 shown]
	buffer_load_dwordx2 v[70:71], v3, s[4:7], 0 offen
	buffer_load_dwordx2 v[86:87], v4, s[4:7], 0 offen
	;; [unrolled: 1-line block ×4, first 2 shown]
	v_subrev_u32_e32 v2, 48, v2
	buffer_load_dwordx2 v[82:83], v2, s[4:7], 0 offen
	v_bitop3_b32 v2, v195, v129, 2 bitop3:0x36
	v_sub_u32_e32 v3, v2, v130
	v_bitop3_b32 v5, v126, v198, 1 bitop3:0x36
	v_lshl_add_u32 v4, v3, 4, v134
	v_sub_u32_e32 v2, v5, v2
	v_lshlrev_b32_e32 v3, 2, v3
	v_lshlrev_b32_e32 v10, 2, v2
	v_lshl_add_u32 v2, v2, 4, v4
	v_sub_u32_e32 v170, v169, v5
	v_add_u32_e32 v5, 0x4100, v132
	s_waitcnt vmcnt(39)
	ds_write2_b64 v134, v[58:59], v[60:61] offset1:1
	v_add3_u32 v168, v3, v135, v10
	ds_write2_b64 v4, v[8:9], v[6:7] offset0:32 offset1:33
	v_lshl_add_u32 v3, v170, 4, v2
	s_waitcnt vmcnt(36)
	ds_write2_b64 v2, v[78:79], v[80:81] offset0:32 offset1:33
	ds_write2_b64 v3, v[112:113], v[110:111] offset1:1
	s_waitcnt vmcnt(35)
	ds_write_b128 v128, v[90:93] offset:16384
	s_waitcnt vmcnt(33)
	ds_write_b128 v131, v[94:97] offset:16640
	s_waitcnt vmcnt(29)
	ds_write2_b64 v5, v[118:119], v[120:121] offset1:1
	v_add_u32_e32 v5, 0x4000, v133
	s_waitcnt vmcnt(28)
	ds_write2_b64 v5, v[98:99], v[100:101] offset1:1
	v_add_u32_e32 v5, 0x4000, v134
	v_add_u32_e32 v4, 0x4100, v4
	;; [unrolled: 1-line block ×3, first 2 shown]
	s_waitcnt vmcnt(27)
	ds_write2_b64 v5, v[102:103], v[104:105] offset1:1
	ds_write2_b64 v4, v[116:117], v[114:115] offset1:1
	s_waitcnt vmcnt(24)
	ds_write2_b64 v2, v[106:107], v[108:109] offset1:1
	v_add_u32_e32 v2, 0x4000, v3
	ds_write2_b64 v2, v[124:125], v[122:123] offset1:1
	v_lshlrev_b32_e32 v2, 4, v167
	v_lshl_or_b32 v200, v127, 8, v2
	v_lshl_or_b32 v201, v194, 8, v2
	v_bitop3_b32 v2, v166, v194, 1 bitop3:0x36
	v_sub_u32_e32 v2, v2, v167
	v_lshlrev_b32_e32 v2, 4, v2
	v_add_u32_e32 v202, v200, v2
	v_add_u32_e32 v203, v201, v2
	v_bitop3_b32 v2, v166, v194, 2 bitop3:0x36
	v_sub_u32_e32 v2, v2, v167
	v_lshlrev_b32_e32 v2, 4, v2
	v_add_u32_e32 v204, v200, v2
	v_add_u32_e32 v205, v201, v2
	;; [unrolled: 5-line block ×3, first 2 shown]
	s_waitcnt lgkmcnt(0)
	s_barrier
	ds_read_b128 v[142:145], v200
	ds_read_b128 v[98:101], v200 offset:8192
	ds_read_b128 v[154:157], v201 offset:16384
	ds_read_b128 v[158:161], v201 offset:20480
	ds_read_b128 v[150:153], v201 offset:24576
	ds_read_b128 v[146:149], v201 offset:28672
	ds_read_b128 v[110:113], v202
	ds_read_b128 v[94:97], v202 offset:8192
	ds_read_b128 v[114:117], v203 offset:16384
	ds_read_b128 v[122:125], v203 offset:20480
	ds_read_b128 v[134:137], v203 offset:24576
	ds_read_b128 v[138:141], v203 offset:28672
	;; [unrolled: 6-line block ×4, first 2 shown]
	v_sub_u32_e32 v167, v199, v169
	v_lshlrev_b32_e32 v166, 2, v170
	v_lshlrev_b32_e32 v167, 2, v167
	v_add3_u32 v210, v168, v166, v167
	; sched_barrier mask(0x00000000)
	v_or_b32_e32 v208, 1, v163
	s_max_i32 s6, s15, 2
	v_sub_u32_e32 v163, v208, v164
	v_and_b32_e32 v164, 3, v0
	v_add_lshl_u32 v215, v162, s19, 2
	v_lshlrev_b32_e32 v216, 2, v162
	v_mov_b32_e32 v162, 0
	v_lshlrev_b32_e32 v209, 6, v163
	v_lshlrev_b32_e32 v211, 6, v164
	v_add_lshl_u32 v212, v165, s20, 2
	v_lshlrev_b32_e32 v213, 2, v165
	v_add_u32_e32 v214, -1, v163
	s_add_i32 s15, s6, -1
	s_movk_i32 s18, 0x100
	s_movk_i32 s19, 0x3f00
	v_not_b32_e32 v217, 63
	s_mov_b32 s6, s23
	v_mov_b32_e32 v218, v210
	v_mov_b32_e32 v163, v162
	;; [unrolled: 1-line block ×32, first 2 shown]
.LBB2_11:                               ; =>This Inner Loop Header: Depth=1
	v_lshlrev_b32_e32 v219, 2, v218
	v_add_u32_e32 v222, v211, v216
	s_waitcnt lgkmcnt(0)
	s_barrier
	s_waitcnt vmcnt(15)
	ds_write2_b64 v219, v[18:19], v[20:21] offset1:1
	buffer_load_dwordx4 v[18:21], v222, s[0:3], 0 offen offset:512
	v_mfma_f32_16x16x4_f32 v[182:185], v142, v154, v[182:185]
	v_ashrrev_i32_e32 v220, 31, v208
	v_add_u32_e32 v221, -1, v208
	v_lshrrev_b32_e32 v220, 28, v220
	v_ashrrev_i32_e32 v223, 31, v221
	v_add_u32_e32 v220, v208, v220
	v_lshrrev_b32_e32 v223, 28, v223
	v_and_b32_e32 v220, -16, v220
	v_add_u32_e32 v223, v221, v223
	v_sub_u32_e32 v220, v208, v220
	v_mfma_f32_16x16x4_f32 v[182:185], v143, v155, v[182:185]
	v_and_b32_e32 v223, -16, v223
	v_xor_b32_e32 v224, v220, v195
	v_sub_u32_e32 v226, v221, v223
	v_sub_u32_e32 v199, v224, v199
	v_xor_b32_e32 v225, v220, v196
	v_xor_b32_e32 v221, v226, v196
	v_lshl_add_u32 v227, v199, 2, v209
	v_sub_u32_e32 v224, v225, v224
	v_sub_u32_e32 v223, v221, v225
	v_lshlrev_b32_e32 v225, 2, v227
	v_lshlrev_b32_e32 v199, 4, v224
	v_add_u32_e32 v219, v219, v225
	v_lshl_add_u32 v228, v223, 2, v217
	s_waitcnt vmcnt(12)
	ds_write2_b64 v219, v[66:67], v[68:69] offset1:1
	v_add_u32_e32 v66, v219, v199
	s_waitcnt vmcnt(11)
	ds_write2_b64 v66, v[62:63], v[64:65] offset1:1
	v_lshl_add_u32 v66, v228, 2, v66
	v_mfma_f32_16x16x4_f32 v[182:185], v144, v156, v[182:185]
	ds_write2_b64 v66, v[14:15], v[16:17] offset1:1
	buffer_load_dwordx4 v[14:17], v222, s[0:3], 0 offen offset:528
	v_xor_b32_e32 v230, v226, v198
	; sched_group_barrier mask(0x00000020) size(1) SyncID(0)
	; sched_group_barrier mask(0x00000008) size(3) SyncID(0)
	;; [unrolled: 1-line block ×3, first 2 shown]
	v_mfma_f32_16x16x4_f32 v[62:65], v142, v158, v[174:177]
	v_mfma_f32_16x16x4_f32 v[62:65], v143, v159, v[62:65]
	;; [unrolled: 1-line block ×3, first 2 shown]
	s_nop 3
	v_xor_b32_e32 v182, v226, v197
	v_sub_u32_e32 v219, v182, v221
	v_lshlrev_b32_e32 v221, 4, v219
	v_add_u32_e32 v183, v66, v221
	ds_write2_b64 v183, v[30:31], v[32:33] offset1:1
	buffer_load_dwordx4 v[30:33], v222, s[0:3], 0 offen offset:544
	; sched_group_barrier mask(0x00000008) size(3) SyncID(0)
	; sched_group_barrier mask(0x00000020) size(1) SyncID(0)
	v_mfma_f32_16x16x4_f32 v[62:65], v144, v160, v[62:65]
	v_mfma_f32_16x16x4_f32 v[66:69], v142, v150, v[178:181]
	v_xor_b32_e32 v178, v220, v197
	v_xor_b32_e32 v179, v220, v198
	v_sub_u32_e32 v231, v178, v182
	v_sub_u32_e32 v229, v179, v178
	v_lshlrev_b32_e32 v233, 4, v231
	v_lshlrev_b32_e32 v220, 4, v229
	v_sub_u32_e32 v232, v230, v179
	v_mfma_f32_16x16x4_f32 v[178:181], v145, v161, v[62:65]
	s_nop 0
	v_add_u32_e32 v62, v183, v233
	v_lshl_add_u32 v234, v232, 2, v217
	s_waitcnt vmcnt(12)
	ds_write2_b64 v62, v[34:35], v[36:37] offset0:32 offset1:33
	v_add3_u32 v34, v62, s18, v220
	s_waitcnt vmcnt(11)
	ds_write2_b64 v34, v[42:43], v[44:45] offset1:1
	v_lshl_add_u32 v34, v234, 2, v34
	ds_write2_b64 v34, v[22:23], v[24:25] offset1:1
	buffer_load_dwordx4 v[22:25], v222, s[0:3], 0 offen offset:560
	v_mfma_f32_16x16x4_f32 v[34:37], v143, v151, v[66:69]
	v_add_u32_e32 v222, v211, v215
	; sched_group_barrier mask(0x00000008) size(3) SyncID(0)
	; sched_group_barrier mask(0x00000020) size(1) SyncID(0)
	v_mfma_f32_16x16x4_f32 v[34:37], v144, v152, v[34:37]
	v_mfma_f32_16x16x4_f32 v[182:185], v145, v153, v[34:37]
	buffer_load_dwordx4 v[66:69], v222, s[0:3], 0 offen offset:512
	; sched_group_barrier mask(0x00000008) size(3) SyncID(0)
	; sched_group_barrier mask(0x00000020) size(1) SyncID(0)
	v_mfma_f32_16x16x4_f32 v[34:37], v142, v146, v[170:173]
	v_mfma_f32_16x16x4_f32 v[34:37], v143, v147, v[34:37]
	;; [unrolled: 1-line block ×3, first 2 shown]
	buffer_load_dwordx4 v[62:65], v222, s[0:3], 0 offen offset:528
	; sched_group_barrier mask(0x00000008) size(3) SyncID(0)
	; sched_group_barrier mask(0x00000020) size(1) SyncID(0)
	v_mfma_f32_16x16x4_f32 v[42:45], v98, v154, v[186:189]
	v_mfma_f32_16x16x4_f32 v[42:45], v99, v155, v[42:45]
	v_mfma_f32_16x16x4_f32 v[142:145], v145, v149, v[34:37]
	s_nop 5
	buffer_load_dwordx4 v[34:37], v222, s[0:3], 0 offen offset:544
	; sched_group_barrier mask(0x00000008) size(3) SyncID(0)
	; sched_group_barrier mask(0x00000020) size(1) SyncID(0)
	v_mfma_f32_16x16x4_f32 v[170:173], v98, v158, v[190:193]
	v_mfma_f32_16x16x4_f32 v[42:45], v100, v156, v[42:45]
	v_mfma_f32_16x16x4_f32 v[154:157], v101, v157, v[42:45]
	s_nop 8
	buffer_load_dwordx4 v[42:45], v222, s[0:3], 0 offen offset:560
	; sched_group_barrier mask(0x00000008) size(3) SyncID(0)
	; sched_group_barrier mask(0x00000020) size(1) SyncID(0)
	v_mfma_f32_16x16x4_f32 v[170:173], v99, v159, v[170:173]
	v_mfma_f32_16x16x4_f32 v[170:173], v100, v160, v[170:173]
	v_mfma_f32_16x16x4_f32 v[158:161], v101, v161, v[170:173]
	s_nop 8
	v_lshlrev_b32_e32 v170, 2, v210
	v_add_u32_e32 v171, v211, v213
	v_add_u32_e32 v172, 0x4000, v170
	s_waitcnt vmcnt(15)
	ds_write2_b64 v172, v[38:39], v[40:41] offset1:1
	buffer_load_dwordx4 v[38:41], v171, s[4:7], 0 offen offset:512
	; sched_group_barrier mask(0x00000008) size(3) SyncID(0)
	; sched_group_barrier mask(0x00000020) size(1) SyncID(0)
	v_mfma_f32_16x16x4_f32 v[166:169], v98, v150, v[166:169]
	v_add_u32_e32 v150, v170, v225
	v_mfma_f32_16x16x4_f32 v[166:169], v99, v151, v[166:169]
	v_add_u32_e32 v151, 0x4000, v150
	v_add_u32_e32 v150, v150, v199
	v_lshl_add_u32 v170, v223, 4, v150
	s_waitcnt vmcnt(9)
	ds_write2_b64 v151, v[82:83], v[84:85] offset1:1
	v_xor_b32_e32 v199, v226, v195
	v_mfma_f32_16x16x4_f32 v[166:169], v100, v152, v[166:169]
	v_add_u32_e32 v152, 0x4000, v150
	v_add_u32_e32 v150, 0x3f00, v170
	ds_write2_b64 v152, v[86:87], v[88:89] offset1:1
	ds_write2_b64 v150, v[46:47], v[48:49] offset1:1
	buffer_load_dwordx4 v[46:49], v171, s[4:7], 0 offen offset:528
	; sched_group_barrier mask(0x00000008) size(3) SyncID(0)
	; sched_group_barrier mask(0x00000020) size(1) SyncID(0)
	v_mfma_f32_16x16x4_f32 v[82:85], v98, v146, v[162:165]
	v_add_u32_e32 v98, v170, v221
	v_add_u32_e32 v86, 0x3f00, v98
	ds_write2_b64 v86, v[50:51], v[52:53] offset1:1
	v_lshlrev_b32_e32 v146, 4, v232
	v_add_u32_e32 v170, v211, v212
	v_mfma_f32_16x16x4_f32 v[82:85], v99, v147, v[82:85]
	v_add_u32_e32 v147, v98, v233
	v_mfma_f32_16x16x4_f32 v[150:153], v101, v153, v[166:169]
	buffer_load_dwordx4 v[50:53], v171, s[4:7], 0 offen offset:544
	; sched_group_barrier mask(0x00000008) size(3) SyncID(0)
	; sched_group_barrier mask(0x00000020) size(1) SyncID(0)
	v_mfma_f32_16x16x4_f32 v[82:85], v100, v148, v[82:85]
	v_add_u32_e32 v148, v147, v220
	v_mfma_f32_16x16x4_f32 v[86:89], v110, v114, v[174:177]
	v_mfma_f32_16x16x4_f32 v[98:101], v101, v149, v[82:85]
	s_nop 6
	v_add_u32_e32 v82, 0x4000, v147
	v_add_u32_e32 v83, 0x4000, v148
	v_add3_u32 v84, v148, v146, s19
	ds_write2_b64 v82, v[70:71], v[72:73] offset1:1
	ds_write2_b64 v83, v[74:75], v[76:77] offset1:1
	;; [unrolled: 1-line block ×3, first 2 shown]
	buffer_load_dwordx4 v[54:57], v171, s[4:7], 0 offen offset:560
	v_mfma_f32_16x16x4_f32 v[70:73], v111, v115, v[86:89]
	; sched_group_barrier mask(0x00000008) size(3) SyncID(0)
	; sched_group_barrier mask(0x00000020) size(1) SyncID(0)
	v_mfma_f32_16x16x4_f32 v[70:73], v112, v116, v[70:73]
	v_mfma_f32_16x16x4_f32 v[146:149], v113, v117, v[70:73]
	buffer_load_dwordx4 v[82:85], v170, s[4:7], 0 offen offset:512
	; sched_group_barrier mask(0x00000008) size(3) SyncID(0)
	; sched_group_barrier mask(0x00000020) size(1) SyncID(0)
	v_mfma_f32_16x16x4_f32 v[70:73], v110, v122, v[178:181]
	v_mfma_f32_16x16x4_f32 v[70:73], v111, v123, v[70:73]
	;; [unrolled: 1-line block ×3, first 2 shown]
	buffer_load_dwordx4 v[86:89], v170, s[4:7], 0 offen offset:528
	; sched_group_barrier mask(0x00000008) size(3) SyncID(0)
	; sched_group_barrier mask(0x00000020) size(1) SyncID(0)
	v_mfma_f32_16x16x4_f32 v[74:77], v110, v134, v[182:185]
	v_mfma_f32_16x16x4_f32 v[74:77], v111, v135, v[74:77]
	;; [unrolled: 1-line block ×3, first 2 shown]
	s_nop 5
	buffer_load_dwordx4 v[70:73], v170, s[4:7], 0 offen offset:544
	; sched_group_barrier mask(0x00000008) size(3) SyncID(0)
	; sched_group_barrier mask(0x00000020) size(1) SyncID(0)
	v_mfma_f32_16x16x4_f32 v[142:145], v110, v138, v[142:145]
	v_mfma_f32_16x16x4_f32 v[74:77], v112, v136, v[74:77]
	;; [unrolled: 1-line block ×3, first 2 shown]
	s_nop 8
	buffer_load_dwordx4 v[74:77], v170, s[4:7], 0 offen offset:560
	s_waitcnt lgkmcnt(0)
	s_barrier
	; sched_group_barrier mask(0x00000008) size(3) SyncID(0)
	; sched_group_barrier mask(0x00000020) size(1) SyncID(0)
	v_mfma_f32_16x16x4_f32 v[142:145], v111, v139, v[142:145]
	v_mfma_f32_16x16x4_f32 v[142:145], v112, v140, v[142:145]
	v_mfma_f32_16x16x4_f32 v[110:113], v113, v141, v[142:145]
	; sched_group_barrier mask(0x00000008) size(3) SyncID(0)
	; sched_group_barrier mask(0x00000020) size(1) SyncID(0)
	v_mfma_f32_16x16x4_f32 v[142:145], v94, v114, v[154:157]
	v_mfma_f32_16x16x4_f32 v[142:145], v95, v115, v[142:145]
	v_mfma_f32_16x16x4_f32 v[142:145], v96, v116, v[142:145]
	;; [unrolled: 5-line block ×17, first 2 shown]
	ds_read_b128 v[142:145], v200
	; sched_group_barrier mask(0x00000008) size(3) SyncID(0)
	; sched_group_barrier mask(0x00000100) size(1) SyncID(0)
	v_mfma_f32_16x16x4_f32 v[90:93], v93, v105, v[94:97]
	ds_read_b128 v[154:157], v201 offset:16384
	; sched_group_barrier mask(0x00000008) size(1) SyncID(0)
	; sched_group_barrier mask(0x00000100) size(1) SyncID(0)
	v_mfma_f32_16x16x4_f32 v[94:97], v78, v10, v[98:101]
	ds_read_b128 v[98:101], v200 offset:8192
	;; [unrolled: 4-line block ×5, first 2 shown]
	; sched_group_barrier mask(0x00000008) size(1) SyncID(0)
	; sched_group_barrier mask(0x00000100) size(1) SyncID(0)
	v_mfma_f32_16x16x4_f32 v[90:93], v2, v26, v[90:93]
	ds_read_b128 v[110:113], v202
	; sched_group_barrier mask(0x00000008) size(1) SyncID(0)
	; sched_group_barrier mask(0x00000100) size(1) SyncID(0)
	v_mfma_f32_16x16x4_f32 v[94:97], v80, v12, v[94:97]
	ds_read_b128 v[114:117], v203 offset:16384
	; sched_group_barrier mask(0x00000008) size(1) SyncID(0)
	; sched_group_barrier mask(0x00000100) size(1) SyncID(0)
	v_mfma_f32_16x16x4_f32 v[166:169], v5, v61, v[102:105]
	ds_read_b128 v[122:125], v203 offset:20480
	;; [unrolled: 4-line block ×3, first 2 shown]
	; sched_group_barrier mask(0x00000008) size(1) SyncID(0)
	; sched_group_barrier mask(0x00000100) size(1) SyncID(0)
	v_mfma_f32_16x16x4_f32 v[182:185], v81, v13, v[94:97]
	ds_read_b128 v[106:109], v204
	; sched_group_barrier mask(0x00000008) size(1) SyncID(0)
	; sched_group_barrier mask(0x00000100) size(1) SyncID(0)
	v_mfma_f32_16x16x4_f32 v[94:97], v78, v6, v[138:141]
	ds_read_b128 v[138:141], v203 offset:28672
	; sched_group_barrier mask(0x00000008) size(1) SyncID(0)
	; sched_group_barrier mask(0x00000100) size(1) SyncID(0)
	v_mfma_f32_16x16x4_f32 v[90:93], v4, v28, v[90:93]
	ds_read_b128 v[118:121], v205 offset:16384
	;; [unrolled: 4-line block ×4, first 2 shown]
	; sched_group_barrier mask(0x00000008) size(1) SyncID(0)
	; sched_group_barrier mask(0x00000100) size(1) SyncID(0)
	v_mfma_f32_16x16x4_f32 v[90:93], v80, v8, v[94:97]
	s_nop 5
	ds_read_b128 v[94:97], v202 offset:8192
	; sched_group_barrier mask(0x00000008) size(1) SyncID(0)
	; sched_group_barrier mask(0x00000100) size(1) SyncID(0)
	v_mfma_f32_16x16x4_f32 v[174:177], v81, v9, v[90:93]
	ds_read_b128 v[102:105], v205 offset:28672
	; sched_group_barrier mask(0x00000008) size(1) SyncID(0)
	; sched_group_barrier mask(0x00000100) size(1) SyncID(0)
	v_mfma_f32_16x16x4_f32 v[90:93], v78, v58, v[170:173]
	; sched_group_barrier mask(0x00000008) size(1) SyncID(0)
	v_mfma_f32_16x16x4_f32 v[90:93], v79, v59, v[90:93]
	v_mfma_f32_16x16x4_f32 v[90:93], v80, v60, v[90:93]
	;; [unrolled: 1-line block ×9, first 2 shown]
	v_lshlrev_b32_e32 v2, 2, v224
	v_lshlrev_b32_e32 v6, 2, v219
	;; [unrolled: 1-line block ×3, first 2 shown]
	v_mfma_f32_16x16x4_f32 v[26:29], v3, v11, v[26:29]
	v_mfma_f32_16x16x4_f32 v[190:193], v3, v7, v[190:193]
	v_sub_u32_e32 v3, v199, v230
	v_lshlrev_b32_e32 v219, 2, v3
	v_mfma_f32_16x16x4_f32 v[26:29], v4, v12, v[26:29]
	v_mfma_f32_16x16x4_f32 v[190:193], v4, v8, v[190:193]
	v_add3_u32 v4, v218, v227, v2
	v_add3_u32 v2, v227, v210, v2
	;; [unrolled: 1-line block ×4, first 2 shown]
	v_lshl_add_u32 v218, v231, 2, 64
	v_add3_u32 v210, v210, v218, v220
	v_add3_u32 v220, v221, v218, v220
	v_mfma_f32_16x16x4_f32 v[186:189], v5, v13, v[26:29]
	v_add3_u32 v218, v210, v234, v219
	v_add3_u32 v210, v220, v234, v219
	v_mfma_f32_16x16x4_f32 v[190:193], v5, v9, v[190:193]
	ds_read_b128 v[2:5], v206 offset:8192
	ds_read_b128 v[6:9], v207 offset:20480
	;; [unrolled: 1-line block ×6, first 2 shown]
	ds_read_b128 v[78:81], v206
	; sched_group_barrier mask(0x00000100) size(1) SyncID(0)
	; sched_group_barrier mask(0x00000008) size(1) SyncID(0)
	; sched_group_barrier mask(0x00000100) size(1) SyncID(0)
	; sched_group_barrier mask(0x00000008) size(1) SyncID(0)
	; sched_group_barrier mask(0x00000100) size(1) SyncID(0)
	; sched_group_barrier mask(0x00000008) size(1) SyncID(0)
	; sched_group_barrier mask(0x00000100) size(1) SyncID(0)
	; sched_group_barrier mask(0x00000008) size(1) SyncID(0)
	; sched_group_barrier mask(0x00000100) size(1) SyncID(0)
	; sched_group_barrier mask(0x00000008) size(1) SyncID(0)
	; sched_group_barrier mask(0x00000100) size(1) SyncID(0)
	; sched_group_barrier mask(0x00000008) size(1) SyncID(0)
	; sched_group_barrier mask(0x00000100) size(1) SyncID(0)
	; sched_group_barrier mask(0x00000008) size(1) SyncID(0)
	; sched_barrier mask(0x00000000)
	s_add_i32 s15, s15, -1
	v_add_u32_e32 v212, 0x100, v212
	v_add_u32_e32 v213, 0x100, v213
	;; [unrolled: 1-line block ×4, first 2 shown]
	s_cmp_lg_u32 s15, 0
	v_add_u32_e32 v216, 0x100, v216
	s_cbranch_scc1 .LBB2_11
; %bb.12:
	s_waitcnt vmcnt(14) lgkmcnt(14)
	v_mfma_f32_16x16x4_f32 v[14:17], v142, v154, v[182:185]
	s_lshl_b64 s[0:1], s[10:11], 2
	v_lshlrev_b32_e32 v0, 3, v0
	s_add_u32 s24, s8, s0
	s_waitcnt vmcnt(5)
	v_and_b32_e32 v52, 24, v0
	s_addc_u32 s2, s9, s1
	s_mul_i32 s0, s12, s21
	s_mul_hi_u32 s1, 0, s21
	v_mfma_f32_16x16x4_f32 v[18:21], v142, v158, v[174:177]
	v_or_b32_e32 v0, s14, v52
	v_lshl_or_b32 v53, s13, 6, v1
	s_add_i32 s3, s1, s0
	v_mad_u64_u32 v[50:51], s[0:1], v53, s21, v[0:1]
	v_lshlrev_b32_e32 v51, 7, v1
	s_waitcnt vmcnt(4)
	v_lshlrev_b32_e32 v54, 2, v194
	v_mfma_f32_16x16x4_f32 v[14:17], v143, v155, v[14:17]
	s_movk_i32 s0, 0xe00
	v_and_or_b32 v51, v51, s0, v54
	s_waitcnt lgkmcnt(0)
	s_barrier
	v_cmp_gt_i32_e32 vcc, s17, v0
	v_cmp_gt_i32_e64 s[6:7], s16, v53
	s_add_i32 s0, s17, s3
	v_mfma_f32_16x16x4_f32 v[18:21], v143, v159, v[18:21]
	s_lshl_b32 s26, s0, 2
	v_bfrev_b32_e32 v54, 1
	s_and_b64 s[0:1], s[6:7], vcc
	s_and_b32 s25, s2, 0xffff
	s_mov_b32 s27, 0x20000
	v_mfma_f32_16x16x4_f32 v[14:17], v144, v156, v[14:17]
	v_mfma_f32_16x16x4_f32 v[18:21], v144, v160, v[18:21]
	;; [unrolled: 1-line block ×89, first 2 shown]
	s_nop 9
	ds_write2_b32 v51, v17, v21 offset0:96 offset1:112
	ds_write2_b32 v51, v16, v20 offset0:64 offset1:80
	v_mfma_f32_16x16x4_f32 v[38:41], v95, v123, v[38:41]
	ds_write2_b32 v51, v15, v19 offset0:32 offset1:48
	ds_write2_b32 v51, v14, v18 offset1:16
	s_waitcnt lgkmcnt(0)
	s_barrier
	v_mfma_f32_16x16x4_f32 v[42:45], v91, v131, v[42:45]
	v_mfma_f32_16x16x4_f32 v[46:49], v91, v103, v[46:49]
	;; [unrolled: 1-line block ×5, first 2 shown]
	v_lshlrev_b32_e32 v10, 2, v52
	v_lshl_or_b32 v52, v1, 7, v10
	ds_read_b128 v[14:17], v52
	v_lshlrev_b32_e32 v1, 2, v50
	v_cndmask_b32_e64 v10, v54, 0, s[0:1]
	v_add_u32_e32 v10, v10, v1
	s_waitcnt lgkmcnt(0)
	buffer_store_dwordx2 v[14:15], v10, s[24:27], 0 offen
	v_mfma_f32_16x16x4_f32 v[38:41], v96, v124, v[38:41]
	v_or_b32_e32 v10, 2, v0
	v_cmp_gt_i32_e64 s[0:1], s17, v10
	s_and_b64 s[2:3], s[6:7], s[0:1]
	v_cndmask_b32_e64 v10, v54, 0, s[2:3]
	v_add_u32_e32 v10, v1, v10
	buffer_store_dwordx2 v[16:17], v10, s[24:27], 0 offen offset:8
	v_or_b32_e32 v10, 4, v0
	v_mfma_f32_16x16x4_f32 v[42:45], v92, v132, v[42:45]
	v_cmp_gt_i32_e64 s[2:3], s17, v10
	s_and_b64 s[4:5], s[6:7], s[2:3]
	v_cndmask_b32_e64 v10, v54, 0, s[4:5]
	v_add_u32_e32 v10, v1, v10
	v_mfma_f32_16x16x4_f32 v[46:49], v92, v104, v[46:49]
	v_mfma_f32_16x16x4_f32 v[22:25], v80, v60, v[22:25]
	;; [unrolled: 1-line block ×5, first 2 shown]
	ds_read_b128 v[34:37], v52 offset:16
	s_waitcnt lgkmcnt(0)
	buffer_store_dwordx2 v[34:35], v10, s[24:27], 0 offen offset:16
	v_or_b32_e32 v10, 6, v0
	v_mfma_f32_16x16x4_f32 v[42:45], v93, v133, v[42:45]
	v_cmp_gt_i32_e64 s[4:5], s17, v10
	s_and_b64 s[8:9], s[6:7], s[4:5]
	v_cndmask_b32_e64 v10, v54, 0, s[8:9]
	v_add_u32_e32 v10, v1, v10
	buffer_store_dwordx2 v[36:37], v10, s[24:27], 0 offen offset:24
	s_waitcnt lgkmcnt(0)
	s_barrier
	v_mfma_f32_16x16x4_f32 v[46:49], v93, v105, v[46:49]
	v_or_b32_e32 v10, 32, v0
	v_cmp_gt_i32_e64 s[8:9], s17, v10
	s_and_b64 s[10:11], s[6:7], s[8:9]
	v_cndmask_b32_e64 v10, v54, 0, s[10:11]
	v_mfma_f32_16x16x4_f32 v[22:25], v81, v61, v[22:25]
	v_mfma_f32_16x16x4_f32 v[30:33], v81, v29, v[30:33]
	;; [unrolled: 1-line block ×3, first 2 shown]
	s_nop 8
	ds_write2_b32 v51, v25, v33 offset0:96 offset1:112
	ds_write2_b32 v51, v24, v32 offset0:64 offset1:80
	;; [unrolled: 1-line block ×3, first 2 shown]
	ds_write2_b32 v51, v22, v30 offset1:16
	s_waitcnt lgkmcnt(0)
	s_barrier
	ds_read_b128 v[22:25], v52
	ds_read_b128 v[34:37], v52 offset:16
	v_mfma_f32_16x16x4_f32 v[42:45], v2, v58, v[42:45]
	v_mfma_f32_16x16x4_f32 v[30:33], v2, v26, v[46:49]
	;; [unrolled: 1-line block ×4, first 2 shown]
	s_nop 6
	v_add_u32_e32 v42, 32, v50
	v_lshl_add_u32 v10, v42, 2, v10
	s_waitcnt lgkmcnt(1)
	buffer_store_dwordx2 v[22:23], v10, s[24:27], 0 offen
	v_or_b32_e32 v10, 34, v0
	v_cmp_gt_i32_e64 s[10:11], s17, v10
	s_and_b64 s[12:13], s[6:7], s[10:11]
	v_cndmask_b32_e64 v10, v54, 0, s[12:13]
	v_mfma_f32_16x16x4_f32 v[30:33], v3, v27, v[30:33]
	v_add_u32_e32 v10, v1, v10
	buffer_store_dwordx2 v[24:25], v10, s[24:27], 0 offen offset:136
	v_or_b32_e32 v10, 36, v0
	v_cmp_gt_i32_e64 s[12:13], s17, v10
	s_and_b64 s[14:15], s[6:7], s[12:13]
	v_or_b32_e32 v0, 38, v0
	v_cndmask_b32_e64 v10, v54, 0, s[14:15]
	v_mfma_f32_16x16x4_f32 v[38:41], v92, v128, v[38:41]
	v_cmp_gt_i32_e64 s[14:15], s17, v0
	v_add_u32_e32 v10, v1, v10
	s_and_b64 s[6:7], s[6:7], s[14:15]
	s_waitcnt lgkmcnt(0)
	buffer_store_dwordx2 v[34:35], v10, s[24:27], 0 offen offset:144
	v_cndmask_b32_e64 v0, v54, 0, s[6:7]
	v_add_u32_e32 v0, v1, v0
	buffer_store_dwordx2 v[36:37], v0, s[24:27], 0 offen offset:152
	v_mfma_f32_16x16x4_f32 v[14:17], v4, v60, v[14:17]
	v_or_b32_e32 v0, 32, v53
	s_waitcnt lgkmcnt(0)
	s_barrier
	v_cmp_gt_i32_e64 s[6:7], s16, v0
	s_lshl_b32 s17, s21, 5
	s_and_b64 s[8:9], s[6:7], s[8:9]
	v_add_lshl_u32 v26, v42, s17, 2
	v_mfma_f32_16x16x4_f32 v[22:25], v4, v28, v[30:33]
	v_cndmask_b32_e64 v0, v54, 0, s[8:9]
	v_add_u32_e32 v0, v26, v0
	s_and_b64 s[8:9], s[6:7], s[10:11]
	s_and_b64 s[0:1], s[6:7], s[0:1]
	v_mfma_f32_16x16x4_f32 v[38:41], v93, v129, v[38:41]
	v_mfma_f32_16x16x4_f32 v[18:21], v4, v12, v[18:21]
	;; [unrolled: 1-line block ×4, first 2 shown]
	s_nop 9
	ds_write2_b32 v51, v17, v25 offset0:96 offset1:112
	ds_write2_b32 v51, v16, v24 offset0:64 offset1:80
	v_mfma_f32_16x16x4_f32 v[10:13], v5, v13, v[18:21]
	ds_write2_b32 v51, v15, v23 offset0:32 offset1:48
	ds_write2_b32 v51, v14, v22 offset1:16
	s_waitcnt lgkmcnt(0)
	s_barrier
	ds_read_b128 v[14:17], v52
	ds_read_b128 v[22:25], v52 offset:16
	s_waitcnt lgkmcnt(1)
	buffer_store_dwordx2 v[14:15], v0, s[24:27], 0 offen
	v_mfma_f32_16x16x4_f32 v[18:21], v2, v6, v[38:41]
	v_mov_b32_e32 v0, 0x80000008
	v_cndmask_b32_e64 v6, v0, 8, s[8:9]
	v_add_u32_e32 v6, v26, v6
	buffer_store_dwordx2 v[16:17], v6, s[24:27], 0 offen
	v_mov_b32_e32 v6, 0x80000010
	s_and_b64 s[8:9], s[6:7], s[12:13]
	v_cndmask_b32_e64 v6, v6, 16, s[8:9]
	v_mfma_f32_16x16x4_f32 v[0:3], v3, v7, v[18:21]
	s_and_b64 s[8:9], s[6:7], s[14:15]
	v_add_u32_e32 v6, v26, v6
	s_waitcnt lgkmcnt(0)
	buffer_store_dwordx2 v[22:23], v6, s[24:27], 0 offen
	v_mfma_f32_16x16x4_f32 v[0:3], v4, v8, v[0:3]
	v_mov_b32_e32 v4, 0x80000018
	v_cndmask_b32_e64 v4, v4, 24, s[8:9]
	v_add_u32_e32 v4, v26, v4
	buffer_store_dwordx2 v[24:25], v4, s[24:27], 0 offen
	s_waitcnt lgkmcnt(0)
	s_barrier
	s_and_b64 s[8:9], vcc, s[6:7]
	v_mfma_f32_16x16x4_f32 v[0:3], v5, v9, v[0:3]
	s_nop 9
	ds_write2_b32 v51, v13, v3 offset0:96 offset1:112
	ds_write2_b32 v51, v12, v2 offset0:64 offset1:80
	;; [unrolled: 1-line block ×3, first 2 shown]
	ds_write2_b32 v51, v10, v0 offset1:16
	s_waitcnt lgkmcnt(0)
	s_barrier
	ds_read_b128 v[0:3], v52
	v_add_lshl_u32 v8, v50, s17, 2
	v_cndmask_b32_e64 v4, v54, 0, s[8:9]
	v_add_u32_e32 v9, v4, v8
	ds_read_b128 v[4:7], v52 offset:16
	s_waitcnt lgkmcnt(1)
	buffer_store_dwordx2 v[0:1], v9, s[24:27], 0 offen
	v_cndmask_b32_e64 v0, v54, 0, s[0:1]
	v_add_u32_e32 v0, v8, v0
	s_and_b64 s[0:1], s[6:7], s[2:3]
	buffer_store_dwordx2 v[2:3], v0, s[24:27], 0 offen offset:8
	v_cndmask_b32_e64 v0, v54, 0, s[0:1]
	v_add_u32_e32 v0, v8, v0
	s_and_b64 s[0:1], s[6:7], s[4:5]
	s_waitcnt lgkmcnt(0)
	buffer_store_dwordx2 v[4:5], v0, s[24:27], 0 offen offset:16
	v_cndmask_b32_e64 v0, v54, 0, s[0:1]
	v_add_u32_e32 v0, v8, v0
	buffer_store_dwordx2 v[6:7], v0, s[24:27], 0 offen offset:24
	s_endpgm
	.section	.rodata,"a",@progbits
	.p2align	6, 0x0
	.amdhsa_kernel _ZN2ck27kernel_gemm_xdl_cshuffle_v3INS_28GridwiseGemm_xdl_cshuffle_v3INS_13tensor_layout4gemm8RowMajorENS3_11ColumnMajorES4_fffffNS_16tensor_operation12element_wise11PassThroughES8_S8_LNS6_6device18GemmSpecializationE0ELi128ELi64ELi64ELi64ELi4ELi4ELi16ELi16ELi2ELi4ENS_8SequenceIJLi4ELi32ELi1EEEENSB_IJLi1ELi0ELi2EEEESD_Li2ELi2ELi2ELb0ELi0ESC_SD_SD_Li2ELi2ELi2ELb0ELi0ELi1ELi2ENSB_IJLi1ELi32ELi1ELi4EEEELi2ELNS_26BlockGemmPipelineSchedulerE0ELNS_24BlockGemmPipelineVersionE2EffLb0ELb0ELb0ELi0ELb0EEELb1ELNS_25InMemoryDataOperationEnumE0ELi2ELNS_10TailNumberE10EEEvNT_8ArgumentE
		.amdhsa_group_segment_fixed_size 32768
		.amdhsa_private_segment_fixed_size 0
		.amdhsa_kernarg_size 112
		.amdhsa_user_sgpr_count 2
		.amdhsa_user_sgpr_dispatch_ptr 0
		.amdhsa_user_sgpr_queue_ptr 0
		.amdhsa_user_sgpr_kernarg_segment_ptr 1
		.amdhsa_user_sgpr_dispatch_id 0
		.amdhsa_user_sgpr_kernarg_preload_length 0
		.amdhsa_user_sgpr_kernarg_preload_offset 0
		.amdhsa_user_sgpr_private_segment_size 0
		.amdhsa_uses_dynamic_stack 0
		.amdhsa_enable_private_segment 0
		.amdhsa_system_sgpr_workgroup_id_x 1
		.amdhsa_system_sgpr_workgroup_id_y 0
		.amdhsa_system_sgpr_workgroup_id_z 1
		.amdhsa_system_sgpr_workgroup_info 0
		.amdhsa_system_vgpr_workitem_id 0
		.amdhsa_next_free_vgpr 235
		.amdhsa_next_free_sgpr 96
		.amdhsa_accum_offset 236
		.amdhsa_reserve_vcc 1
		.amdhsa_float_round_mode_32 0
		.amdhsa_float_round_mode_16_64 0
		.amdhsa_float_denorm_mode_32 3
		.amdhsa_float_denorm_mode_16_64 3
		.amdhsa_dx10_clamp 1
		.amdhsa_ieee_mode 1
		.amdhsa_fp16_overflow 0
		.amdhsa_tg_split 0
		.amdhsa_exception_fp_ieee_invalid_op 0
		.amdhsa_exception_fp_denorm_src 0
		.amdhsa_exception_fp_ieee_div_zero 0
		.amdhsa_exception_fp_ieee_overflow 0
		.amdhsa_exception_fp_ieee_underflow 0
		.amdhsa_exception_fp_ieee_inexact 0
		.amdhsa_exception_int_div_zero 0
	.end_amdhsa_kernel
	.section	.text._ZN2ck27kernel_gemm_xdl_cshuffle_v3INS_28GridwiseGemm_xdl_cshuffle_v3INS_13tensor_layout4gemm8RowMajorENS3_11ColumnMajorES4_fffffNS_16tensor_operation12element_wise11PassThroughES8_S8_LNS6_6device18GemmSpecializationE0ELi128ELi64ELi64ELi64ELi4ELi4ELi16ELi16ELi2ELi4ENS_8SequenceIJLi4ELi32ELi1EEEENSB_IJLi1ELi0ELi2EEEESD_Li2ELi2ELi2ELb0ELi0ESC_SD_SD_Li2ELi2ELi2ELb0ELi0ELi1ELi2ENSB_IJLi1ELi32ELi1ELi4EEEELi2ELNS_26BlockGemmPipelineSchedulerE0ELNS_24BlockGemmPipelineVersionE2EffLb0ELb0ELb0ELi0ELb0EEELb1ELNS_25InMemoryDataOperationEnumE0ELi2ELNS_10TailNumberE10EEEvNT_8ArgumentE,"axG",@progbits,_ZN2ck27kernel_gemm_xdl_cshuffle_v3INS_28GridwiseGemm_xdl_cshuffle_v3INS_13tensor_layout4gemm8RowMajorENS3_11ColumnMajorES4_fffffNS_16tensor_operation12element_wise11PassThroughES8_S8_LNS6_6device18GemmSpecializationE0ELi128ELi64ELi64ELi64ELi4ELi4ELi16ELi16ELi2ELi4ENS_8SequenceIJLi4ELi32ELi1EEEENSB_IJLi1ELi0ELi2EEEESD_Li2ELi2ELi2ELb0ELi0ESC_SD_SD_Li2ELi2ELi2ELb0ELi0ELi1ELi2ENSB_IJLi1ELi32ELi1ELi4EEEELi2ELNS_26BlockGemmPipelineSchedulerE0ELNS_24BlockGemmPipelineVersionE2EffLb0ELb0ELb0ELi0ELb0EEELb1ELNS_25InMemoryDataOperationEnumE0ELi2ELNS_10TailNumberE10EEEvNT_8ArgumentE,comdat
.Lfunc_end2:
	.size	_ZN2ck27kernel_gemm_xdl_cshuffle_v3INS_28GridwiseGemm_xdl_cshuffle_v3INS_13tensor_layout4gemm8RowMajorENS3_11ColumnMajorES4_fffffNS_16tensor_operation12element_wise11PassThroughES8_S8_LNS6_6device18GemmSpecializationE0ELi128ELi64ELi64ELi64ELi4ELi4ELi16ELi16ELi2ELi4ENS_8SequenceIJLi4ELi32ELi1EEEENSB_IJLi1ELi0ELi2EEEESD_Li2ELi2ELi2ELb0ELi0ESC_SD_SD_Li2ELi2ELi2ELb0ELi0ELi1ELi2ENSB_IJLi1ELi32ELi1ELi4EEEELi2ELNS_26BlockGemmPipelineSchedulerE0ELNS_24BlockGemmPipelineVersionE2EffLb0ELb0ELb0ELi0ELb0EEELb1ELNS_25InMemoryDataOperationEnumE0ELi2ELNS_10TailNumberE10EEEvNT_8ArgumentE, .Lfunc_end2-_ZN2ck27kernel_gemm_xdl_cshuffle_v3INS_28GridwiseGemm_xdl_cshuffle_v3INS_13tensor_layout4gemm8RowMajorENS3_11ColumnMajorES4_fffffNS_16tensor_operation12element_wise11PassThroughES8_S8_LNS6_6device18GemmSpecializationE0ELi128ELi64ELi64ELi64ELi4ELi4ELi16ELi16ELi2ELi4ENS_8SequenceIJLi4ELi32ELi1EEEENSB_IJLi1ELi0ELi2EEEESD_Li2ELi2ELi2ELb0ELi0ESC_SD_SD_Li2ELi2ELi2ELb0ELi0ELi1ELi2ENSB_IJLi1ELi32ELi1ELi4EEEELi2ELNS_26BlockGemmPipelineSchedulerE0ELNS_24BlockGemmPipelineVersionE2EffLb0ELb0ELb0ELi0ELb0EEELb1ELNS_25InMemoryDataOperationEnumE0ELi2ELNS_10TailNumberE10EEEvNT_8ArgumentE
                                        ; -- End function
	.set _ZN2ck27kernel_gemm_xdl_cshuffle_v3INS_28GridwiseGemm_xdl_cshuffle_v3INS_13tensor_layout4gemm8RowMajorENS3_11ColumnMajorES4_fffffNS_16tensor_operation12element_wise11PassThroughES8_S8_LNS6_6device18GemmSpecializationE0ELi128ELi64ELi64ELi64ELi4ELi4ELi16ELi16ELi2ELi4ENS_8SequenceIJLi4ELi32ELi1EEEENSB_IJLi1ELi0ELi2EEEESD_Li2ELi2ELi2ELb0ELi0ESC_SD_SD_Li2ELi2ELi2ELb0ELi0ELi1ELi2ENSB_IJLi1ELi32ELi1ELi4EEEELi2ELNS_26BlockGemmPipelineSchedulerE0ELNS_24BlockGemmPipelineVersionE2EffLb0ELb0ELb0ELi0ELb0EEELb1ELNS_25InMemoryDataOperationEnumE0ELi2ELNS_10TailNumberE10EEEvNT_8ArgumentE.num_vgpr, 235
	.set _ZN2ck27kernel_gemm_xdl_cshuffle_v3INS_28GridwiseGemm_xdl_cshuffle_v3INS_13tensor_layout4gemm8RowMajorENS3_11ColumnMajorES4_fffffNS_16tensor_operation12element_wise11PassThroughES8_S8_LNS6_6device18GemmSpecializationE0ELi128ELi64ELi64ELi64ELi4ELi4ELi16ELi16ELi2ELi4ENS_8SequenceIJLi4ELi32ELi1EEEENSB_IJLi1ELi0ELi2EEEESD_Li2ELi2ELi2ELb0ELi0ESC_SD_SD_Li2ELi2ELi2ELb0ELi0ELi1ELi2ENSB_IJLi1ELi32ELi1ELi4EEEELi2ELNS_26BlockGemmPipelineSchedulerE0ELNS_24BlockGemmPipelineVersionE2EffLb0ELb0ELb0ELi0ELb0EEELb1ELNS_25InMemoryDataOperationEnumE0ELi2ELNS_10TailNumberE10EEEvNT_8ArgumentE.num_agpr, 0
	.set _ZN2ck27kernel_gemm_xdl_cshuffle_v3INS_28GridwiseGemm_xdl_cshuffle_v3INS_13tensor_layout4gemm8RowMajorENS3_11ColumnMajorES4_fffffNS_16tensor_operation12element_wise11PassThroughES8_S8_LNS6_6device18GemmSpecializationE0ELi128ELi64ELi64ELi64ELi4ELi4ELi16ELi16ELi2ELi4ENS_8SequenceIJLi4ELi32ELi1EEEENSB_IJLi1ELi0ELi2EEEESD_Li2ELi2ELi2ELb0ELi0ESC_SD_SD_Li2ELi2ELi2ELb0ELi0ELi1ELi2ENSB_IJLi1ELi32ELi1ELi4EEEELi2ELNS_26BlockGemmPipelineSchedulerE0ELNS_24BlockGemmPipelineVersionE2EffLb0ELb0ELb0ELi0ELb0EEELb1ELNS_25InMemoryDataOperationEnumE0ELi2ELNS_10TailNumberE10EEEvNT_8ArgumentE.numbered_sgpr, 29
	.set _ZN2ck27kernel_gemm_xdl_cshuffle_v3INS_28GridwiseGemm_xdl_cshuffle_v3INS_13tensor_layout4gemm8RowMajorENS3_11ColumnMajorES4_fffffNS_16tensor_operation12element_wise11PassThroughES8_S8_LNS6_6device18GemmSpecializationE0ELi128ELi64ELi64ELi64ELi4ELi4ELi16ELi16ELi2ELi4ENS_8SequenceIJLi4ELi32ELi1EEEENSB_IJLi1ELi0ELi2EEEESD_Li2ELi2ELi2ELb0ELi0ESC_SD_SD_Li2ELi2ELi2ELb0ELi0ELi1ELi2ENSB_IJLi1ELi32ELi1ELi4EEEELi2ELNS_26BlockGemmPipelineSchedulerE0ELNS_24BlockGemmPipelineVersionE2EffLb0ELb0ELb0ELi0ELb0EEELb1ELNS_25InMemoryDataOperationEnumE0ELi2ELNS_10TailNumberE10EEEvNT_8ArgumentE.num_named_barrier, 0
	.set _ZN2ck27kernel_gemm_xdl_cshuffle_v3INS_28GridwiseGemm_xdl_cshuffle_v3INS_13tensor_layout4gemm8RowMajorENS3_11ColumnMajorES4_fffffNS_16tensor_operation12element_wise11PassThroughES8_S8_LNS6_6device18GemmSpecializationE0ELi128ELi64ELi64ELi64ELi4ELi4ELi16ELi16ELi2ELi4ENS_8SequenceIJLi4ELi32ELi1EEEENSB_IJLi1ELi0ELi2EEEESD_Li2ELi2ELi2ELb0ELi0ESC_SD_SD_Li2ELi2ELi2ELb0ELi0ELi1ELi2ENSB_IJLi1ELi32ELi1ELi4EEEELi2ELNS_26BlockGemmPipelineSchedulerE0ELNS_24BlockGemmPipelineVersionE2EffLb0ELb0ELb0ELi0ELb0EEELb1ELNS_25InMemoryDataOperationEnumE0ELi2ELNS_10TailNumberE10EEEvNT_8ArgumentE.private_seg_size, 0
	.set _ZN2ck27kernel_gemm_xdl_cshuffle_v3INS_28GridwiseGemm_xdl_cshuffle_v3INS_13tensor_layout4gemm8RowMajorENS3_11ColumnMajorES4_fffffNS_16tensor_operation12element_wise11PassThroughES8_S8_LNS6_6device18GemmSpecializationE0ELi128ELi64ELi64ELi64ELi4ELi4ELi16ELi16ELi2ELi4ENS_8SequenceIJLi4ELi32ELi1EEEENSB_IJLi1ELi0ELi2EEEESD_Li2ELi2ELi2ELb0ELi0ESC_SD_SD_Li2ELi2ELi2ELb0ELi0ELi1ELi2ENSB_IJLi1ELi32ELi1ELi4EEEELi2ELNS_26BlockGemmPipelineSchedulerE0ELNS_24BlockGemmPipelineVersionE2EffLb0ELb0ELb0ELi0ELb0EEELb1ELNS_25InMemoryDataOperationEnumE0ELi2ELNS_10TailNumberE10EEEvNT_8ArgumentE.uses_vcc, 1
	.set _ZN2ck27kernel_gemm_xdl_cshuffle_v3INS_28GridwiseGemm_xdl_cshuffle_v3INS_13tensor_layout4gemm8RowMajorENS3_11ColumnMajorES4_fffffNS_16tensor_operation12element_wise11PassThroughES8_S8_LNS6_6device18GemmSpecializationE0ELi128ELi64ELi64ELi64ELi4ELi4ELi16ELi16ELi2ELi4ENS_8SequenceIJLi4ELi32ELi1EEEENSB_IJLi1ELi0ELi2EEEESD_Li2ELi2ELi2ELb0ELi0ESC_SD_SD_Li2ELi2ELi2ELb0ELi0ELi1ELi2ENSB_IJLi1ELi32ELi1ELi4EEEELi2ELNS_26BlockGemmPipelineSchedulerE0ELNS_24BlockGemmPipelineVersionE2EffLb0ELb0ELb0ELi0ELb0EEELb1ELNS_25InMemoryDataOperationEnumE0ELi2ELNS_10TailNumberE10EEEvNT_8ArgumentE.uses_flat_scratch, 0
	.set _ZN2ck27kernel_gemm_xdl_cshuffle_v3INS_28GridwiseGemm_xdl_cshuffle_v3INS_13tensor_layout4gemm8RowMajorENS3_11ColumnMajorES4_fffffNS_16tensor_operation12element_wise11PassThroughES8_S8_LNS6_6device18GemmSpecializationE0ELi128ELi64ELi64ELi64ELi4ELi4ELi16ELi16ELi2ELi4ENS_8SequenceIJLi4ELi32ELi1EEEENSB_IJLi1ELi0ELi2EEEESD_Li2ELi2ELi2ELb0ELi0ESC_SD_SD_Li2ELi2ELi2ELb0ELi0ELi1ELi2ENSB_IJLi1ELi32ELi1ELi4EEEELi2ELNS_26BlockGemmPipelineSchedulerE0ELNS_24BlockGemmPipelineVersionE2EffLb0ELb0ELb0ELi0ELb0EEELb1ELNS_25InMemoryDataOperationEnumE0ELi2ELNS_10TailNumberE10EEEvNT_8ArgumentE.has_dyn_sized_stack, 0
	.set _ZN2ck27kernel_gemm_xdl_cshuffle_v3INS_28GridwiseGemm_xdl_cshuffle_v3INS_13tensor_layout4gemm8RowMajorENS3_11ColumnMajorES4_fffffNS_16tensor_operation12element_wise11PassThroughES8_S8_LNS6_6device18GemmSpecializationE0ELi128ELi64ELi64ELi64ELi4ELi4ELi16ELi16ELi2ELi4ENS_8SequenceIJLi4ELi32ELi1EEEENSB_IJLi1ELi0ELi2EEEESD_Li2ELi2ELi2ELb0ELi0ESC_SD_SD_Li2ELi2ELi2ELb0ELi0ELi1ELi2ENSB_IJLi1ELi32ELi1ELi4EEEELi2ELNS_26BlockGemmPipelineSchedulerE0ELNS_24BlockGemmPipelineVersionE2EffLb0ELb0ELb0ELi0ELb0EEELb1ELNS_25InMemoryDataOperationEnumE0ELi2ELNS_10TailNumberE10EEEvNT_8ArgumentE.has_recursion, 0
	.set _ZN2ck27kernel_gemm_xdl_cshuffle_v3INS_28GridwiseGemm_xdl_cshuffle_v3INS_13tensor_layout4gemm8RowMajorENS3_11ColumnMajorES4_fffffNS_16tensor_operation12element_wise11PassThroughES8_S8_LNS6_6device18GemmSpecializationE0ELi128ELi64ELi64ELi64ELi4ELi4ELi16ELi16ELi2ELi4ENS_8SequenceIJLi4ELi32ELi1EEEENSB_IJLi1ELi0ELi2EEEESD_Li2ELi2ELi2ELb0ELi0ESC_SD_SD_Li2ELi2ELi2ELb0ELi0ELi1ELi2ENSB_IJLi1ELi32ELi1ELi4EEEELi2ELNS_26BlockGemmPipelineSchedulerE0ELNS_24BlockGemmPipelineVersionE2EffLb0ELb0ELb0ELi0ELb0EEELb1ELNS_25InMemoryDataOperationEnumE0ELi2ELNS_10TailNumberE10EEEvNT_8ArgumentE.has_indirect_call, 0
	.section	.AMDGPU.csdata,"",@progbits
; Kernel info:
; codeLenInByte = 6340
; TotalNumSgprs: 35
; NumVgprs: 235
; NumAgprs: 0
; TotalNumVgprs: 235
; ScratchSize: 0
; MemoryBound: 0
; FloatMode: 240
; IeeeMode: 1
; LDSByteSize: 32768 bytes/workgroup (compile time only)
; SGPRBlocks: 12
; VGPRBlocks: 29
; NumSGPRsForWavesPerEU: 102
; NumVGPRsForWavesPerEU: 235
; AccumOffset: 236
; Occupancy: 2
; WaveLimiterHint : 0
; COMPUTE_PGM_RSRC2:SCRATCH_EN: 0
; COMPUTE_PGM_RSRC2:USER_SGPR: 2
; COMPUTE_PGM_RSRC2:TRAP_HANDLER: 0
; COMPUTE_PGM_RSRC2:TGID_X_EN: 1
; COMPUTE_PGM_RSRC2:TGID_Y_EN: 0
; COMPUTE_PGM_RSRC2:TGID_Z_EN: 1
; COMPUTE_PGM_RSRC2:TIDIG_COMP_CNT: 0
; COMPUTE_PGM_RSRC3_GFX90A:ACCUM_OFFSET: 58
; COMPUTE_PGM_RSRC3_GFX90A:TG_SPLIT: 0
	.section	.text._ZN2ck27kernel_gemm_xdl_cshuffle_v3INS_28GridwiseGemm_xdl_cshuffle_v3INS_13tensor_layout4gemm8RowMajorENS3_11ColumnMajorES4_fffffNS_16tensor_operation12element_wise11PassThroughES8_S8_LNS6_6device18GemmSpecializationE0ELi128ELi64ELi64ELi64ELi4ELi4ELi16ELi16ELi2ELi2ENS_8SequenceIJLi4ELi32ELi1EEEENSB_IJLi1ELi0ELi2EEEESD_Li2ELi2ELi2ELb0ELi0ESC_SD_SD_Li2ELi2ELi2ELb0ELi0ELi1ELi2ENSB_IJLi1ELi32ELi1ELi4EEEELi2ELNS_26BlockGemmPipelineSchedulerE0ELNS_24BlockGemmPipelineVersionE2EffLb0ELb0ELb0ELi0ELb0EEELb1ELNS_25InMemoryDataOperationEnumE1ELi2ELNS_10TailNumberE10EEEvNT_8ArgumentE,"axG",@progbits,_ZN2ck27kernel_gemm_xdl_cshuffle_v3INS_28GridwiseGemm_xdl_cshuffle_v3INS_13tensor_layout4gemm8RowMajorENS3_11ColumnMajorES4_fffffNS_16tensor_operation12element_wise11PassThroughES8_S8_LNS6_6device18GemmSpecializationE0ELi128ELi64ELi64ELi64ELi4ELi4ELi16ELi16ELi2ELi2ENS_8SequenceIJLi4ELi32ELi1EEEENSB_IJLi1ELi0ELi2EEEESD_Li2ELi2ELi2ELb0ELi0ESC_SD_SD_Li2ELi2ELi2ELb0ELi0ELi1ELi2ENSB_IJLi1ELi32ELi1ELi4EEEELi2ELNS_26BlockGemmPipelineSchedulerE0ELNS_24BlockGemmPipelineVersionE2EffLb0ELb0ELb0ELi0ELb0EEELb1ELNS_25InMemoryDataOperationEnumE1ELi2ELNS_10TailNumberE10EEEvNT_8ArgumentE,comdat
	.protected	_ZN2ck27kernel_gemm_xdl_cshuffle_v3INS_28GridwiseGemm_xdl_cshuffle_v3INS_13tensor_layout4gemm8RowMajorENS3_11ColumnMajorES4_fffffNS_16tensor_operation12element_wise11PassThroughES8_S8_LNS6_6device18GemmSpecializationE0ELi128ELi64ELi64ELi64ELi4ELi4ELi16ELi16ELi2ELi2ENS_8SequenceIJLi4ELi32ELi1EEEENSB_IJLi1ELi0ELi2EEEESD_Li2ELi2ELi2ELb0ELi0ESC_SD_SD_Li2ELi2ELi2ELb0ELi0ELi1ELi2ENSB_IJLi1ELi32ELi1ELi4EEEELi2ELNS_26BlockGemmPipelineSchedulerE0ELNS_24BlockGemmPipelineVersionE2EffLb0ELb0ELb0ELi0ELb0EEELb1ELNS_25InMemoryDataOperationEnumE1ELi2ELNS_10TailNumberE10EEEvNT_8ArgumentE ; -- Begin function _ZN2ck27kernel_gemm_xdl_cshuffle_v3INS_28GridwiseGemm_xdl_cshuffle_v3INS_13tensor_layout4gemm8RowMajorENS3_11ColumnMajorES4_fffffNS_16tensor_operation12element_wise11PassThroughES8_S8_LNS6_6device18GemmSpecializationE0ELi128ELi64ELi64ELi64ELi4ELi4ELi16ELi16ELi2ELi2ENS_8SequenceIJLi4ELi32ELi1EEEENSB_IJLi1ELi0ELi2EEEESD_Li2ELi2ELi2ELb0ELi0ESC_SD_SD_Li2ELi2ELi2ELb0ELi0ELi1ELi2ENSB_IJLi1ELi32ELi1ELi4EEEELi2ELNS_26BlockGemmPipelineSchedulerE0ELNS_24BlockGemmPipelineVersionE2EffLb0ELb0ELb0ELi0ELb0EEELb1ELNS_25InMemoryDataOperationEnumE1ELi2ELNS_10TailNumberE10EEEvNT_8ArgumentE
	.globl	_ZN2ck27kernel_gemm_xdl_cshuffle_v3INS_28GridwiseGemm_xdl_cshuffle_v3INS_13tensor_layout4gemm8RowMajorENS3_11ColumnMajorES4_fffffNS_16tensor_operation12element_wise11PassThroughES8_S8_LNS6_6device18GemmSpecializationE0ELi128ELi64ELi64ELi64ELi4ELi4ELi16ELi16ELi2ELi2ENS_8SequenceIJLi4ELi32ELi1EEEENSB_IJLi1ELi0ELi2EEEESD_Li2ELi2ELi2ELb0ELi0ESC_SD_SD_Li2ELi2ELi2ELb0ELi0ELi1ELi2ENSB_IJLi1ELi32ELi1ELi4EEEELi2ELNS_26BlockGemmPipelineSchedulerE0ELNS_24BlockGemmPipelineVersionE2EffLb0ELb0ELb0ELi0ELb0EEELb1ELNS_25InMemoryDataOperationEnumE1ELi2ELNS_10TailNumberE10EEEvNT_8ArgumentE
	.p2align	8
	.type	_ZN2ck27kernel_gemm_xdl_cshuffle_v3INS_28GridwiseGemm_xdl_cshuffle_v3INS_13tensor_layout4gemm8RowMajorENS3_11ColumnMajorES4_fffffNS_16tensor_operation12element_wise11PassThroughES8_S8_LNS6_6device18GemmSpecializationE0ELi128ELi64ELi64ELi64ELi4ELi4ELi16ELi16ELi2ELi2ENS_8SequenceIJLi4ELi32ELi1EEEENSB_IJLi1ELi0ELi2EEEESD_Li2ELi2ELi2ELb0ELi0ESC_SD_SD_Li2ELi2ELi2ELb0ELi0ELi1ELi2ENSB_IJLi1ELi32ELi1ELi4EEEELi2ELNS_26BlockGemmPipelineSchedulerE0ELNS_24BlockGemmPipelineVersionE2EffLb0ELb0ELb0ELi0ELb0EEELb1ELNS_25InMemoryDataOperationEnumE1ELi2ELNS_10TailNumberE10EEEvNT_8ArgumentE,@function
_ZN2ck27kernel_gemm_xdl_cshuffle_v3INS_28GridwiseGemm_xdl_cshuffle_v3INS_13tensor_layout4gemm8RowMajorENS3_11ColumnMajorES4_fffffNS_16tensor_operation12element_wise11PassThroughES8_S8_LNS6_6device18GemmSpecializationE0ELi128ELi64ELi64ELi64ELi4ELi4ELi16ELi16ELi2ELi2ENS_8SequenceIJLi4ELi32ELi1EEEENSB_IJLi1ELi0ELi2EEEESD_Li2ELi2ELi2ELb0ELi0ESC_SD_SD_Li2ELi2ELi2ELb0ELi0ELi1ELi2ENSB_IJLi1ELi32ELi1ELi4EEEELi2ELNS_26BlockGemmPipelineSchedulerE0ELNS_24BlockGemmPipelineVersionE2EffLb0ELb0ELb0ELi0ELb0EEELb1ELNS_25InMemoryDataOperationEnumE1ELi2ELNS_10TailNumberE10EEEvNT_8ArgumentE: ; @_ZN2ck27kernel_gemm_xdl_cshuffle_v3INS_28GridwiseGemm_xdl_cshuffle_v3INS_13tensor_layout4gemm8RowMajorENS3_11ColumnMajorES4_fffffNS_16tensor_operation12element_wise11PassThroughES8_S8_LNS6_6device18GemmSpecializationE0ELi128ELi64ELi64ELi64ELi4ELi4ELi16ELi16ELi2ELi2ENS_8SequenceIJLi4ELi32ELi1EEEENSB_IJLi1ELi0ELi2EEEESD_Li2ELi2ELi2ELb0ELi0ESC_SD_SD_Li2ELi2ELi2ELb0ELi0ELi1ELi2ENSB_IJLi1ELi32ELi1ELi4EEEELi2ELNS_26BlockGemmPipelineSchedulerE0ELNS_24BlockGemmPipelineVersionE2EffLb0ELb0ELb0ELi0ELb0EEELb1ELNS_25InMemoryDataOperationEnumE1ELi2ELNS_10TailNumberE10EEEvNT_8ArgumentE
; %bb.0:
	s_endpgm
	.section	.rodata,"a",@progbits
	.p2align	6, 0x0
	.amdhsa_kernel _ZN2ck27kernel_gemm_xdl_cshuffle_v3INS_28GridwiseGemm_xdl_cshuffle_v3INS_13tensor_layout4gemm8RowMajorENS3_11ColumnMajorES4_fffffNS_16tensor_operation12element_wise11PassThroughES8_S8_LNS6_6device18GemmSpecializationE0ELi128ELi64ELi64ELi64ELi4ELi4ELi16ELi16ELi2ELi2ENS_8SequenceIJLi4ELi32ELi1EEEENSB_IJLi1ELi0ELi2EEEESD_Li2ELi2ELi2ELb0ELi0ESC_SD_SD_Li2ELi2ELi2ELb0ELi0ELi1ELi2ENSB_IJLi1ELi32ELi1ELi4EEEELi2ELNS_26BlockGemmPipelineSchedulerE0ELNS_24BlockGemmPipelineVersionE2EffLb0ELb0ELb0ELi0ELb0EEELb1ELNS_25InMemoryDataOperationEnumE1ELi2ELNS_10TailNumberE10EEEvNT_8ArgumentE
		.amdhsa_group_segment_fixed_size 0
		.amdhsa_private_segment_fixed_size 0
		.amdhsa_kernarg_size 112
		.amdhsa_user_sgpr_count 2
		.amdhsa_user_sgpr_dispatch_ptr 0
		.amdhsa_user_sgpr_queue_ptr 0
		.amdhsa_user_sgpr_kernarg_segment_ptr 1
		.amdhsa_user_sgpr_dispatch_id 0
		.amdhsa_user_sgpr_kernarg_preload_length 0
		.amdhsa_user_sgpr_kernarg_preload_offset 0
		.amdhsa_user_sgpr_private_segment_size 0
		.amdhsa_uses_dynamic_stack 0
		.amdhsa_enable_private_segment 0
		.amdhsa_system_sgpr_workgroup_id_x 1
		.amdhsa_system_sgpr_workgroup_id_y 0
		.amdhsa_system_sgpr_workgroup_id_z 0
		.amdhsa_system_sgpr_workgroup_info 0
		.amdhsa_system_vgpr_workitem_id 0
		.amdhsa_next_free_vgpr 1
		.amdhsa_next_free_sgpr 0
		.amdhsa_accum_offset 4
		.amdhsa_reserve_vcc 0
		.amdhsa_float_round_mode_32 0
		.amdhsa_float_round_mode_16_64 0
		.amdhsa_float_denorm_mode_32 3
		.amdhsa_float_denorm_mode_16_64 3
		.amdhsa_dx10_clamp 1
		.amdhsa_ieee_mode 1
		.amdhsa_fp16_overflow 0
		.amdhsa_tg_split 0
		.amdhsa_exception_fp_ieee_invalid_op 0
		.amdhsa_exception_fp_denorm_src 0
		.amdhsa_exception_fp_ieee_div_zero 0
		.amdhsa_exception_fp_ieee_overflow 0
		.amdhsa_exception_fp_ieee_underflow 0
		.amdhsa_exception_fp_ieee_inexact 0
		.amdhsa_exception_int_div_zero 0
	.end_amdhsa_kernel
	.section	.text._ZN2ck27kernel_gemm_xdl_cshuffle_v3INS_28GridwiseGemm_xdl_cshuffle_v3INS_13tensor_layout4gemm8RowMajorENS3_11ColumnMajorES4_fffffNS_16tensor_operation12element_wise11PassThroughES8_S8_LNS6_6device18GemmSpecializationE0ELi128ELi64ELi64ELi64ELi4ELi4ELi16ELi16ELi2ELi2ENS_8SequenceIJLi4ELi32ELi1EEEENSB_IJLi1ELi0ELi2EEEESD_Li2ELi2ELi2ELb0ELi0ESC_SD_SD_Li2ELi2ELi2ELb0ELi0ELi1ELi2ENSB_IJLi1ELi32ELi1ELi4EEEELi2ELNS_26BlockGemmPipelineSchedulerE0ELNS_24BlockGemmPipelineVersionE2EffLb0ELb0ELb0ELi0ELb0EEELb1ELNS_25InMemoryDataOperationEnumE1ELi2ELNS_10TailNumberE10EEEvNT_8ArgumentE,"axG",@progbits,_ZN2ck27kernel_gemm_xdl_cshuffle_v3INS_28GridwiseGemm_xdl_cshuffle_v3INS_13tensor_layout4gemm8RowMajorENS3_11ColumnMajorES4_fffffNS_16tensor_operation12element_wise11PassThroughES8_S8_LNS6_6device18GemmSpecializationE0ELi128ELi64ELi64ELi64ELi4ELi4ELi16ELi16ELi2ELi2ENS_8SequenceIJLi4ELi32ELi1EEEENSB_IJLi1ELi0ELi2EEEESD_Li2ELi2ELi2ELb0ELi0ESC_SD_SD_Li2ELi2ELi2ELb0ELi0ELi1ELi2ENSB_IJLi1ELi32ELi1ELi4EEEELi2ELNS_26BlockGemmPipelineSchedulerE0ELNS_24BlockGemmPipelineVersionE2EffLb0ELb0ELb0ELi0ELb0EEELb1ELNS_25InMemoryDataOperationEnumE1ELi2ELNS_10TailNumberE10EEEvNT_8ArgumentE,comdat
.Lfunc_end3:
	.size	_ZN2ck27kernel_gemm_xdl_cshuffle_v3INS_28GridwiseGemm_xdl_cshuffle_v3INS_13tensor_layout4gemm8RowMajorENS3_11ColumnMajorES4_fffffNS_16tensor_operation12element_wise11PassThroughES8_S8_LNS6_6device18GemmSpecializationE0ELi128ELi64ELi64ELi64ELi4ELi4ELi16ELi16ELi2ELi2ENS_8SequenceIJLi4ELi32ELi1EEEENSB_IJLi1ELi0ELi2EEEESD_Li2ELi2ELi2ELb0ELi0ESC_SD_SD_Li2ELi2ELi2ELb0ELi0ELi1ELi2ENSB_IJLi1ELi32ELi1ELi4EEEELi2ELNS_26BlockGemmPipelineSchedulerE0ELNS_24BlockGemmPipelineVersionE2EffLb0ELb0ELb0ELi0ELb0EEELb1ELNS_25InMemoryDataOperationEnumE1ELi2ELNS_10TailNumberE10EEEvNT_8ArgumentE, .Lfunc_end3-_ZN2ck27kernel_gemm_xdl_cshuffle_v3INS_28GridwiseGemm_xdl_cshuffle_v3INS_13tensor_layout4gemm8RowMajorENS3_11ColumnMajorES4_fffffNS_16tensor_operation12element_wise11PassThroughES8_S8_LNS6_6device18GemmSpecializationE0ELi128ELi64ELi64ELi64ELi4ELi4ELi16ELi16ELi2ELi2ENS_8SequenceIJLi4ELi32ELi1EEEENSB_IJLi1ELi0ELi2EEEESD_Li2ELi2ELi2ELb0ELi0ESC_SD_SD_Li2ELi2ELi2ELb0ELi0ELi1ELi2ENSB_IJLi1ELi32ELi1ELi4EEEELi2ELNS_26BlockGemmPipelineSchedulerE0ELNS_24BlockGemmPipelineVersionE2EffLb0ELb0ELb0ELi0ELb0EEELb1ELNS_25InMemoryDataOperationEnumE1ELi2ELNS_10TailNumberE10EEEvNT_8ArgumentE
                                        ; -- End function
	.set _ZN2ck27kernel_gemm_xdl_cshuffle_v3INS_28GridwiseGemm_xdl_cshuffle_v3INS_13tensor_layout4gemm8RowMajorENS3_11ColumnMajorES4_fffffNS_16tensor_operation12element_wise11PassThroughES8_S8_LNS6_6device18GemmSpecializationE0ELi128ELi64ELi64ELi64ELi4ELi4ELi16ELi16ELi2ELi2ENS_8SequenceIJLi4ELi32ELi1EEEENSB_IJLi1ELi0ELi2EEEESD_Li2ELi2ELi2ELb0ELi0ESC_SD_SD_Li2ELi2ELi2ELb0ELi0ELi1ELi2ENSB_IJLi1ELi32ELi1ELi4EEEELi2ELNS_26BlockGemmPipelineSchedulerE0ELNS_24BlockGemmPipelineVersionE2EffLb0ELb0ELb0ELi0ELb0EEELb1ELNS_25InMemoryDataOperationEnumE1ELi2ELNS_10TailNumberE10EEEvNT_8ArgumentE.num_vgpr, 0
	.set _ZN2ck27kernel_gemm_xdl_cshuffle_v3INS_28GridwiseGemm_xdl_cshuffle_v3INS_13tensor_layout4gemm8RowMajorENS3_11ColumnMajorES4_fffffNS_16tensor_operation12element_wise11PassThroughES8_S8_LNS6_6device18GemmSpecializationE0ELi128ELi64ELi64ELi64ELi4ELi4ELi16ELi16ELi2ELi2ENS_8SequenceIJLi4ELi32ELi1EEEENSB_IJLi1ELi0ELi2EEEESD_Li2ELi2ELi2ELb0ELi0ESC_SD_SD_Li2ELi2ELi2ELb0ELi0ELi1ELi2ENSB_IJLi1ELi32ELi1ELi4EEEELi2ELNS_26BlockGemmPipelineSchedulerE0ELNS_24BlockGemmPipelineVersionE2EffLb0ELb0ELb0ELi0ELb0EEELb1ELNS_25InMemoryDataOperationEnumE1ELi2ELNS_10TailNumberE10EEEvNT_8ArgumentE.num_agpr, 0
	.set _ZN2ck27kernel_gemm_xdl_cshuffle_v3INS_28GridwiseGemm_xdl_cshuffle_v3INS_13tensor_layout4gemm8RowMajorENS3_11ColumnMajorES4_fffffNS_16tensor_operation12element_wise11PassThroughES8_S8_LNS6_6device18GemmSpecializationE0ELi128ELi64ELi64ELi64ELi4ELi4ELi16ELi16ELi2ELi2ENS_8SequenceIJLi4ELi32ELi1EEEENSB_IJLi1ELi0ELi2EEEESD_Li2ELi2ELi2ELb0ELi0ESC_SD_SD_Li2ELi2ELi2ELb0ELi0ELi1ELi2ENSB_IJLi1ELi32ELi1ELi4EEEELi2ELNS_26BlockGemmPipelineSchedulerE0ELNS_24BlockGemmPipelineVersionE2EffLb0ELb0ELb0ELi0ELb0EEELb1ELNS_25InMemoryDataOperationEnumE1ELi2ELNS_10TailNumberE10EEEvNT_8ArgumentE.numbered_sgpr, 0
	.set _ZN2ck27kernel_gemm_xdl_cshuffle_v3INS_28GridwiseGemm_xdl_cshuffle_v3INS_13tensor_layout4gemm8RowMajorENS3_11ColumnMajorES4_fffffNS_16tensor_operation12element_wise11PassThroughES8_S8_LNS6_6device18GemmSpecializationE0ELi128ELi64ELi64ELi64ELi4ELi4ELi16ELi16ELi2ELi2ENS_8SequenceIJLi4ELi32ELi1EEEENSB_IJLi1ELi0ELi2EEEESD_Li2ELi2ELi2ELb0ELi0ESC_SD_SD_Li2ELi2ELi2ELb0ELi0ELi1ELi2ENSB_IJLi1ELi32ELi1ELi4EEEELi2ELNS_26BlockGemmPipelineSchedulerE0ELNS_24BlockGemmPipelineVersionE2EffLb0ELb0ELb0ELi0ELb0EEELb1ELNS_25InMemoryDataOperationEnumE1ELi2ELNS_10TailNumberE10EEEvNT_8ArgumentE.num_named_barrier, 0
	.set _ZN2ck27kernel_gemm_xdl_cshuffle_v3INS_28GridwiseGemm_xdl_cshuffle_v3INS_13tensor_layout4gemm8RowMajorENS3_11ColumnMajorES4_fffffNS_16tensor_operation12element_wise11PassThroughES8_S8_LNS6_6device18GemmSpecializationE0ELi128ELi64ELi64ELi64ELi4ELi4ELi16ELi16ELi2ELi2ENS_8SequenceIJLi4ELi32ELi1EEEENSB_IJLi1ELi0ELi2EEEESD_Li2ELi2ELi2ELb0ELi0ESC_SD_SD_Li2ELi2ELi2ELb0ELi0ELi1ELi2ENSB_IJLi1ELi32ELi1ELi4EEEELi2ELNS_26BlockGemmPipelineSchedulerE0ELNS_24BlockGemmPipelineVersionE2EffLb0ELb0ELb0ELi0ELb0EEELb1ELNS_25InMemoryDataOperationEnumE1ELi2ELNS_10TailNumberE10EEEvNT_8ArgumentE.private_seg_size, 0
	.set _ZN2ck27kernel_gemm_xdl_cshuffle_v3INS_28GridwiseGemm_xdl_cshuffle_v3INS_13tensor_layout4gemm8RowMajorENS3_11ColumnMajorES4_fffffNS_16tensor_operation12element_wise11PassThroughES8_S8_LNS6_6device18GemmSpecializationE0ELi128ELi64ELi64ELi64ELi4ELi4ELi16ELi16ELi2ELi2ENS_8SequenceIJLi4ELi32ELi1EEEENSB_IJLi1ELi0ELi2EEEESD_Li2ELi2ELi2ELb0ELi0ESC_SD_SD_Li2ELi2ELi2ELb0ELi0ELi1ELi2ENSB_IJLi1ELi32ELi1ELi4EEEELi2ELNS_26BlockGemmPipelineSchedulerE0ELNS_24BlockGemmPipelineVersionE2EffLb0ELb0ELb0ELi0ELb0EEELb1ELNS_25InMemoryDataOperationEnumE1ELi2ELNS_10TailNumberE10EEEvNT_8ArgumentE.uses_vcc, 0
	.set _ZN2ck27kernel_gemm_xdl_cshuffle_v3INS_28GridwiseGemm_xdl_cshuffle_v3INS_13tensor_layout4gemm8RowMajorENS3_11ColumnMajorES4_fffffNS_16tensor_operation12element_wise11PassThroughES8_S8_LNS6_6device18GemmSpecializationE0ELi128ELi64ELi64ELi64ELi4ELi4ELi16ELi16ELi2ELi2ENS_8SequenceIJLi4ELi32ELi1EEEENSB_IJLi1ELi0ELi2EEEESD_Li2ELi2ELi2ELb0ELi0ESC_SD_SD_Li2ELi2ELi2ELb0ELi0ELi1ELi2ENSB_IJLi1ELi32ELi1ELi4EEEELi2ELNS_26BlockGemmPipelineSchedulerE0ELNS_24BlockGemmPipelineVersionE2EffLb0ELb0ELb0ELi0ELb0EEELb1ELNS_25InMemoryDataOperationEnumE1ELi2ELNS_10TailNumberE10EEEvNT_8ArgumentE.uses_flat_scratch, 0
	.set _ZN2ck27kernel_gemm_xdl_cshuffle_v3INS_28GridwiseGemm_xdl_cshuffle_v3INS_13tensor_layout4gemm8RowMajorENS3_11ColumnMajorES4_fffffNS_16tensor_operation12element_wise11PassThroughES8_S8_LNS6_6device18GemmSpecializationE0ELi128ELi64ELi64ELi64ELi4ELi4ELi16ELi16ELi2ELi2ENS_8SequenceIJLi4ELi32ELi1EEEENSB_IJLi1ELi0ELi2EEEESD_Li2ELi2ELi2ELb0ELi0ESC_SD_SD_Li2ELi2ELi2ELb0ELi0ELi1ELi2ENSB_IJLi1ELi32ELi1ELi4EEEELi2ELNS_26BlockGemmPipelineSchedulerE0ELNS_24BlockGemmPipelineVersionE2EffLb0ELb0ELb0ELi0ELb0EEELb1ELNS_25InMemoryDataOperationEnumE1ELi2ELNS_10TailNumberE10EEEvNT_8ArgumentE.has_dyn_sized_stack, 0
	.set _ZN2ck27kernel_gemm_xdl_cshuffle_v3INS_28GridwiseGemm_xdl_cshuffle_v3INS_13tensor_layout4gemm8RowMajorENS3_11ColumnMajorES4_fffffNS_16tensor_operation12element_wise11PassThroughES8_S8_LNS6_6device18GemmSpecializationE0ELi128ELi64ELi64ELi64ELi4ELi4ELi16ELi16ELi2ELi2ENS_8SequenceIJLi4ELi32ELi1EEEENSB_IJLi1ELi0ELi2EEEESD_Li2ELi2ELi2ELb0ELi0ESC_SD_SD_Li2ELi2ELi2ELb0ELi0ELi1ELi2ENSB_IJLi1ELi32ELi1ELi4EEEELi2ELNS_26BlockGemmPipelineSchedulerE0ELNS_24BlockGemmPipelineVersionE2EffLb0ELb0ELb0ELi0ELb0EEELb1ELNS_25InMemoryDataOperationEnumE1ELi2ELNS_10TailNumberE10EEEvNT_8ArgumentE.has_recursion, 0
	.set _ZN2ck27kernel_gemm_xdl_cshuffle_v3INS_28GridwiseGemm_xdl_cshuffle_v3INS_13tensor_layout4gemm8RowMajorENS3_11ColumnMajorES4_fffffNS_16tensor_operation12element_wise11PassThroughES8_S8_LNS6_6device18GemmSpecializationE0ELi128ELi64ELi64ELi64ELi4ELi4ELi16ELi16ELi2ELi2ENS_8SequenceIJLi4ELi32ELi1EEEENSB_IJLi1ELi0ELi2EEEESD_Li2ELi2ELi2ELb0ELi0ESC_SD_SD_Li2ELi2ELi2ELb0ELi0ELi1ELi2ENSB_IJLi1ELi32ELi1ELi4EEEELi2ELNS_26BlockGemmPipelineSchedulerE0ELNS_24BlockGemmPipelineVersionE2EffLb0ELb0ELb0ELi0ELb0EEELb1ELNS_25InMemoryDataOperationEnumE1ELi2ELNS_10TailNumberE10EEEvNT_8ArgumentE.has_indirect_call, 0
	.section	.AMDGPU.csdata,"",@progbits
; Kernel info:
; codeLenInByte = 4
; TotalNumSgprs: 6
; NumVgprs: 0
; NumAgprs: 0
; TotalNumVgprs: 0
; ScratchSize: 0
; MemoryBound: 0
; FloatMode: 240
; IeeeMode: 1
; LDSByteSize: 0 bytes/workgroup (compile time only)
; SGPRBlocks: 0
; VGPRBlocks: 0
; NumSGPRsForWavesPerEU: 6
; NumVGPRsForWavesPerEU: 1
; AccumOffset: 4
; Occupancy: 8
; WaveLimiterHint : 0
; COMPUTE_PGM_RSRC2:SCRATCH_EN: 0
; COMPUTE_PGM_RSRC2:USER_SGPR: 2
; COMPUTE_PGM_RSRC2:TRAP_HANDLER: 0
; COMPUTE_PGM_RSRC2:TGID_X_EN: 1
; COMPUTE_PGM_RSRC2:TGID_Y_EN: 0
; COMPUTE_PGM_RSRC2:TGID_Z_EN: 0
; COMPUTE_PGM_RSRC2:TIDIG_COMP_CNT: 0
; COMPUTE_PGM_RSRC3_GFX90A:ACCUM_OFFSET: 0
; COMPUTE_PGM_RSRC3_GFX90A:TG_SPLIT: 0
	.section	.text._ZN2ck27kernel_gemm_xdl_cshuffle_v3INS_28GridwiseGemm_xdl_cshuffle_v3INS_13tensor_layout4gemm8RowMajorENS3_11ColumnMajorES4_fffffNS_16tensor_operation12element_wise11PassThroughES8_S8_LNS6_6device18GemmSpecializationE0ELi128ELi64ELi64ELi64ELi4ELi4ELi16ELi16ELi2ELi2ENS_8SequenceIJLi4ELi32ELi1EEEENSB_IJLi1ELi0ELi2EEEESD_Li2ELi2ELi2ELb0ELi0ESC_SD_SD_Li2ELi2ELi2ELb0ELi0ELi1ELi2ENSB_IJLi1ELi32ELi1ELi4EEEELi2ELNS_26BlockGemmPipelineSchedulerE0ELNS_24BlockGemmPipelineVersionE2EffLb0ELb0ELb0ELi0ELb0EEELb1ELNS_25InMemoryDataOperationEnumE0ELi2ELNS_10TailNumberE10EEEvNT_8ArgumentE,"axG",@progbits,_ZN2ck27kernel_gemm_xdl_cshuffle_v3INS_28GridwiseGemm_xdl_cshuffle_v3INS_13tensor_layout4gemm8RowMajorENS3_11ColumnMajorES4_fffffNS_16tensor_operation12element_wise11PassThroughES8_S8_LNS6_6device18GemmSpecializationE0ELi128ELi64ELi64ELi64ELi4ELi4ELi16ELi16ELi2ELi2ENS_8SequenceIJLi4ELi32ELi1EEEENSB_IJLi1ELi0ELi2EEEESD_Li2ELi2ELi2ELb0ELi0ESC_SD_SD_Li2ELi2ELi2ELb0ELi0ELi1ELi2ENSB_IJLi1ELi32ELi1ELi4EEEELi2ELNS_26BlockGemmPipelineSchedulerE0ELNS_24BlockGemmPipelineVersionE2EffLb0ELb0ELb0ELi0ELb0EEELb1ELNS_25InMemoryDataOperationEnumE0ELi2ELNS_10TailNumberE10EEEvNT_8ArgumentE,comdat
	.protected	_ZN2ck27kernel_gemm_xdl_cshuffle_v3INS_28GridwiseGemm_xdl_cshuffle_v3INS_13tensor_layout4gemm8RowMajorENS3_11ColumnMajorES4_fffffNS_16tensor_operation12element_wise11PassThroughES8_S8_LNS6_6device18GemmSpecializationE0ELi128ELi64ELi64ELi64ELi4ELi4ELi16ELi16ELi2ELi2ENS_8SequenceIJLi4ELi32ELi1EEEENSB_IJLi1ELi0ELi2EEEESD_Li2ELi2ELi2ELb0ELi0ESC_SD_SD_Li2ELi2ELi2ELb0ELi0ELi1ELi2ENSB_IJLi1ELi32ELi1ELi4EEEELi2ELNS_26BlockGemmPipelineSchedulerE0ELNS_24BlockGemmPipelineVersionE2EffLb0ELb0ELb0ELi0ELb0EEELb1ELNS_25InMemoryDataOperationEnumE0ELi2ELNS_10TailNumberE10EEEvNT_8ArgumentE ; -- Begin function _ZN2ck27kernel_gemm_xdl_cshuffle_v3INS_28GridwiseGemm_xdl_cshuffle_v3INS_13tensor_layout4gemm8RowMajorENS3_11ColumnMajorES4_fffffNS_16tensor_operation12element_wise11PassThroughES8_S8_LNS6_6device18GemmSpecializationE0ELi128ELi64ELi64ELi64ELi4ELi4ELi16ELi16ELi2ELi2ENS_8SequenceIJLi4ELi32ELi1EEEENSB_IJLi1ELi0ELi2EEEESD_Li2ELi2ELi2ELb0ELi0ESC_SD_SD_Li2ELi2ELi2ELb0ELi0ELi1ELi2ENSB_IJLi1ELi32ELi1ELi4EEEELi2ELNS_26BlockGemmPipelineSchedulerE0ELNS_24BlockGemmPipelineVersionE2EffLb0ELb0ELb0ELi0ELb0EEELb1ELNS_25InMemoryDataOperationEnumE0ELi2ELNS_10TailNumberE10EEEvNT_8ArgumentE
	.globl	_ZN2ck27kernel_gemm_xdl_cshuffle_v3INS_28GridwiseGemm_xdl_cshuffle_v3INS_13tensor_layout4gemm8RowMajorENS3_11ColumnMajorES4_fffffNS_16tensor_operation12element_wise11PassThroughES8_S8_LNS6_6device18GemmSpecializationE0ELi128ELi64ELi64ELi64ELi4ELi4ELi16ELi16ELi2ELi2ENS_8SequenceIJLi4ELi32ELi1EEEENSB_IJLi1ELi0ELi2EEEESD_Li2ELi2ELi2ELb0ELi0ESC_SD_SD_Li2ELi2ELi2ELb0ELi0ELi1ELi2ENSB_IJLi1ELi32ELi1ELi4EEEELi2ELNS_26BlockGemmPipelineSchedulerE0ELNS_24BlockGemmPipelineVersionE2EffLb0ELb0ELb0ELi0ELb0EEELb1ELNS_25InMemoryDataOperationEnumE0ELi2ELNS_10TailNumberE10EEEvNT_8ArgumentE
	.p2align	8
	.type	_ZN2ck27kernel_gemm_xdl_cshuffle_v3INS_28GridwiseGemm_xdl_cshuffle_v3INS_13tensor_layout4gemm8RowMajorENS3_11ColumnMajorES4_fffffNS_16tensor_operation12element_wise11PassThroughES8_S8_LNS6_6device18GemmSpecializationE0ELi128ELi64ELi64ELi64ELi4ELi4ELi16ELi16ELi2ELi2ENS_8SequenceIJLi4ELi32ELi1EEEENSB_IJLi1ELi0ELi2EEEESD_Li2ELi2ELi2ELb0ELi0ESC_SD_SD_Li2ELi2ELi2ELb0ELi0ELi1ELi2ENSB_IJLi1ELi32ELi1ELi4EEEELi2ELNS_26BlockGemmPipelineSchedulerE0ELNS_24BlockGemmPipelineVersionE2EffLb0ELb0ELb0ELi0ELb0EEELb1ELNS_25InMemoryDataOperationEnumE0ELi2ELNS_10TailNumberE10EEEvNT_8ArgumentE,@function
_ZN2ck27kernel_gemm_xdl_cshuffle_v3INS_28GridwiseGemm_xdl_cshuffle_v3INS_13tensor_layout4gemm8RowMajorENS3_11ColumnMajorES4_fffffNS_16tensor_operation12element_wise11PassThroughES8_S8_LNS6_6device18GemmSpecializationE0ELi128ELi64ELi64ELi64ELi4ELi4ELi16ELi16ELi2ELi2ENS_8SequenceIJLi4ELi32ELi1EEEENSB_IJLi1ELi0ELi2EEEESD_Li2ELi2ELi2ELb0ELi0ESC_SD_SD_Li2ELi2ELi2ELb0ELi0ELi1ELi2ENSB_IJLi1ELi32ELi1ELi4EEEELi2ELNS_26BlockGemmPipelineSchedulerE0ELNS_24BlockGemmPipelineVersionE2EffLb0ELb0ELb0ELi0ELb0EEELb1ELNS_25InMemoryDataOperationEnumE0ELi2ELNS_10TailNumberE10EEEvNT_8ArgumentE: ; @_ZN2ck27kernel_gemm_xdl_cshuffle_v3INS_28GridwiseGemm_xdl_cshuffle_v3INS_13tensor_layout4gemm8RowMajorENS3_11ColumnMajorES4_fffffNS_16tensor_operation12element_wise11PassThroughES8_S8_LNS6_6device18GemmSpecializationE0ELi128ELi64ELi64ELi64ELi4ELi4ELi16ELi16ELi2ELi2ENS_8SequenceIJLi4ELi32ELi1EEEENSB_IJLi1ELi0ELi2EEEESD_Li2ELi2ELi2ELb0ELi0ESC_SD_SD_Li2ELi2ELi2ELb0ELi0ELi1ELi2ENSB_IJLi1ELi32ELi1ELi4EEEELi2ELNS_26BlockGemmPipelineSchedulerE0ELNS_24BlockGemmPipelineVersionE2EffLb0ELb0ELb0ELi0ELb0EEELb1ELNS_25InMemoryDataOperationEnumE0ELi2ELNS_10TailNumberE10EEEvNT_8ArgumentE
; %bb.0:
	s_endpgm
	.section	.rodata,"a",@progbits
	.p2align	6, 0x0
	.amdhsa_kernel _ZN2ck27kernel_gemm_xdl_cshuffle_v3INS_28GridwiseGemm_xdl_cshuffle_v3INS_13tensor_layout4gemm8RowMajorENS3_11ColumnMajorES4_fffffNS_16tensor_operation12element_wise11PassThroughES8_S8_LNS6_6device18GemmSpecializationE0ELi128ELi64ELi64ELi64ELi4ELi4ELi16ELi16ELi2ELi2ENS_8SequenceIJLi4ELi32ELi1EEEENSB_IJLi1ELi0ELi2EEEESD_Li2ELi2ELi2ELb0ELi0ESC_SD_SD_Li2ELi2ELi2ELb0ELi0ELi1ELi2ENSB_IJLi1ELi32ELi1ELi4EEEELi2ELNS_26BlockGemmPipelineSchedulerE0ELNS_24BlockGemmPipelineVersionE2EffLb0ELb0ELb0ELi0ELb0EEELb1ELNS_25InMemoryDataOperationEnumE0ELi2ELNS_10TailNumberE10EEEvNT_8ArgumentE
		.amdhsa_group_segment_fixed_size 0
		.amdhsa_private_segment_fixed_size 0
		.amdhsa_kernarg_size 112
		.amdhsa_user_sgpr_count 2
		.amdhsa_user_sgpr_dispatch_ptr 0
		.amdhsa_user_sgpr_queue_ptr 0
		.amdhsa_user_sgpr_kernarg_segment_ptr 1
		.amdhsa_user_sgpr_dispatch_id 0
		.amdhsa_user_sgpr_kernarg_preload_length 0
		.amdhsa_user_sgpr_kernarg_preload_offset 0
		.amdhsa_user_sgpr_private_segment_size 0
		.amdhsa_uses_dynamic_stack 0
		.amdhsa_enable_private_segment 0
		.amdhsa_system_sgpr_workgroup_id_x 1
		.amdhsa_system_sgpr_workgroup_id_y 0
		.amdhsa_system_sgpr_workgroup_id_z 0
		.amdhsa_system_sgpr_workgroup_info 0
		.amdhsa_system_vgpr_workitem_id 0
		.amdhsa_next_free_vgpr 1
		.amdhsa_next_free_sgpr 0
		.amdhsa_accum_offset 4
		.amdhsa_reserve_vcc 0
		.amdhsa_float_round_mode_32 0
		.amdhsa_float_round_mode_16_64 0
		.amdhsa_float_denorm_mode_32 3
		.amdhsa_float_denorm_mode_16_64 3
		.amdhsa_dx10_clamp 1
		.amdhsa_ieee_mode 1
		.amdhsa_fp16_overflow 0
		.amdhsa_tg_split 0
		.amdhsa_exception_fp_ieee_invalid_op 0
		.amdhsa_exception_fp_denorm_src 0
		.amdhsa_exception_fp_ieee_div_zero 0
		.amdhsa_exception_fp_ieee_overflow 0
		.amdhsa_exception_fp_ieee_underflow 0
		.amdhsa_exception_fp_ieee_inexact 0
		.amdhsa_exception_int_div_zero 0
	.end_amdhsa_kernel
	.section	.text._ZN2ck27kernel_gemm_xdl_cshuffle_v3INS_28GridwiseGemm_xdl_cshuffle_v3INS_13tensor_layout4gemm8RowMajorENS3_11ColumnMajorES4_fffffNS_16tensor_operation12element_wise11PassThroughES8_S8_LNS6_6device18GemmSpecializationE0ELi128ELi64ELi64ELi64ELi4ELi4ELi16ELi16ELi2ELi2ENS_8SequenceIJLi4ELi32ELi1EEEENSB_IJLi1ELi0ELi2EEEESD_Li2ELi2ELi2ELb0ELi0ESC_SD_SD_Li2ELi2ELi2ELb0ELi0ELi1ELi2ENSB_IJLi1ELi32ELi1ELi4EEEELi2ELNS_26BlockGemmPipelineSchedulerE0ELNS_24BlockGemmPipelineVersionE2EffLb0ELb0ELb0ELi0ELb0EEELb1ELNS_25InMemoryDataOperationEnumE0ELi2ELNS_10TailNumberE10EEEvNT_8ArgumentE,"axG",@progbits,_ZN2ck27kernel_gemm_xdl_cshuffle_v3INS_28GridwiseGemm_xdl_cshuffle_v3INS_13tensor_layout4gemm8RowMajorENS3_11ColumnMajorES4_fffffNS_16tensor_operation12element_wise11PassThroughES8_S8_LNS6_6device18GemmSpecializationE0ELi128ELi64ELi64ELi64ELi4ELi4ELi16ELi16ELi2ELi2ENS_8SequenceIJLi4ELi32ELi1EEEENSB_IJLi1ELi0ELi2EEEESD_Li2ELi2ELi2ELb0ELi0ESC_SD_SD_Li2ELi2ELi2ELb0ELi0ELi1ELi2ENSB_IJLi1ELi32ELi1ELi4EEEELi2ELNS_26BlockGemmPipelineSchedulerE0ELNS_24BlockGemmPipelineVersionE2EffLb0ELb0ELb0ELi0ELb0EEELb1ELNS_25InMemoryDataOperationEnumE0ELi2ELNS_10TailNumberE10EEEvNT_8ArgumentE,comdat
.Lfunc_end4:
	.size	_ZN2ck27kernel_gemm_xdl_cshuffle_v3INS_28GridwiseGemm_xdl_cshuffle_v3INS_13tensor_layout4gemm8RowMajorENS3_11ColumnMajorES4_fffffNS_16tensor_operation12element_wise11PassThroughES8_S8_LNS6_6device18GemmSpecializationE0ELi128ELi64ELi64ELi64ELi4ELi4ELi16ELi16ELi2ELi2ENS_8SequenceIJLi4ELi32ELi1EEEENSB_IJLi1ELi0ELi2EEEESD_Li2ELi2ELi2ELb0ELi0ESC_SD_SD_Li2ELi2ELi2ELb0ELi0ELi1ELi2ENSB_IJLi1ELi32ELi1ELi4EEEELi2ELNS_26BlockGemmPipelineSchedulerE0ELNS_24BlockGemmPipelineVersionE2EffLb0ELb0ELb0ELi0ELb0EEELb1ELNS_25InMemoryDataOperationEnumE0ELi2ELNS_10TailNumberE10EEEvNT_8ArgumentE, .Lfunc_end4-_ZN2ck27kernel_gemm_xdl_cshuffle_v3INS_28GridwiseGemm_xdl_cshuffle_v3INS_13tensor_layout4gemm8RowMajorENS3_11ColumnMajorES4_fffffNS_16tensor_operation12element_wise11PassThroughES8_S8_LNS6_6device18GemmSpecializationE0ELi128ELi64ELi64ELi64ELi4ELi4ELi16ELi16ELi2ELi2ENS_8SequenceIJLi4ELi32ELi1EEEENSB_IJLi1ELi0ELi2EEEESD_Li2ELi2ELi2ELb0ELi0ESC_SD_SD_Li2ELi2ELi2ELb0ELi0ELi1ELi2ENSB_IJLi1ELi32ELi1ELi4EEEELi2ELNS_26BlockGemmPipelineSchedulerE0ELNS_24BlockGemmPipelineVersionE2EffLb0ELb0ELb0ELi0ELb0EEELb1ELNS_25InMemoryDataOperationEnumE0ELi2ELNS_10TailNumberE10EEEvNT_8ArgumentE
                                        ; -- End function
	.set _ZN2ck27kernel_gemm_xdl_cshuffle_v3INS_28GridwiseGemm_xdl_cshuffle_v3INS_13tensor_layout4gemm8RowMajorENS3_11ColumnMajorES4_fffffNS_16tensor_operation12element_wise11PassThroughES8_S8_LNS6_6device18GemmSpecializationE0ELi128ELi64ELi64ELi64ELi4ELi4ELi16ELi16ELi2ELi2ENS_8SequenceIJLi4ELi32ELi1EEEENSB_IJLi1ELi0ELi2EEEESD_Li2ELi2ELi2ELb0ELi0ESC_SD_SD_Li2ELi2ELi2ELb0ELi0ELi1ELi2ENSB_IJLi1ELi32ELi1ELi4EEEELi2ELNS_26BlockGemmPipelineSchedulerE0ELNS_24BlockGemmPipelineVersionE2EffLb0ELb0ELb0ELi0ELb0EEELb1ELNS_25InMemoryDataOperationEnumE0ELi2ELNS_10TailNumberE10EEEvNT_8ArgumentE.num_vgpr, 0
	.set _ZN2ck27kernel_gemm_xdl_cshuffle_v3INS_28GridwiseGemm_xdl_cshuffle_v3INS_13tensor_layout4gemm8RowMajorENS3_11ColumnMajorES4_fffffNS_16tensor_operation12element_wise11PassThroughES8_S8_LNS6_6device18GemmSpecializationE0ELi128ELi64ELi64ELi64ELi4ELi4ELi16ELi16ELi2ELi2ENS_8SequenceIJLi4ELi32ELi1EEEENSB_IJLi1ELi0ELi2EEEESD_Li2ELi2ELi2ELb0ELi0ESC_SD_SD_Li2ELi2ELi2ELb0ELi0ELi1ELi2ENSB_IJLi1ELi32ELi1ELi4EEEELi2ELNS_26BlockGemmPipelineSchedulerE0ELNS_24BlockGemmPipelineVersionE2EffLb0ELb0ELb0ELi0ELb0EEELb1ELNS_25InMemoryDataOperationEnumE0ELi2ELNS_10TailNumberE10EEEvNT_8ArgumentE.num_agpr, 0
	.set _ZN2ck27kernel_gemm_xdl_cshuffle_v3INS_28GridwiseGemm_xdl_cshuffle_v3INS_13tensor_layout4gemm8RowMajorENS3_11ColumnMajorES4_fffffNS_16tensor_operation12element_wise11PassThroughES8_S8_LNS6_6device18GemmSpecializationE0ELi128ELi64ELi64ELi64ELi4ELi4ELi16ELi16ELi2ELi2ENS_8SequenceIJLi4ELi32ELi1EEEENSB_IJLi1ELi0ELi2EEEESD_Li2ELi2ELi2ELb0ELi0ESC_SD_SD_Li2ELi2ELi2ELb0ELi0ELi1ELi2ENSB_IJLi1ELi32ELi1ELi4EEEELi2ELNS_26BlockGemmPipelineSchedulerE0ELNS_24BlockGemmPipelineVersionE2EffLb0ELb0ELb0ELi0ELb0EEELb1ELNS_25InMemoryDataOperationEnumE0ELi2ELNS_10TailNumberE10EEEvNT_8ArgumentE.numbered_sgpr, 0
	.set _ZN2ck27kernel_gemm_xdl_cshuffle_v3INS_28GridwiseGemm_xdl_cshuffle_v3INS_13tensor_layout4gemm8RowMajorENS3_11ColumnMajorES4_fffffNS_16tensor_operation12element_wise11PassThroughES8_S8_LNS6_6device18GemmSpecializationE0ELi128ELi64ELi64ELi64ELi4ELi4ELi16ELi16ELi2ELi2ENS_8SequenceIJLi4ELi32ELi1EEEENSB_IJLi1ELi0ELi2EEEESD_Li2ELi2ELi2ELb0ELi0ESC_SD_SD_Li2ELi2ELi2ELb0ELi0ELi1ELi2ENSB_IJLi1ELi32ELi1ELi4EEEELi2ELNS_26BlockGemmPipelineSchedulerE0ELNS_24BlockGemmPipelineVersionE2EffLb0ELb0ELb0ELi0ELb0EEELb1ELNS_25InMemoryDataOperationEnumE0ELi2ELNS_10TailNumberE10EEEvNT_8ArgumentE.num_named_barrier, 0
	.set _ZN2ck27kernel_gemm_xdl_cshuffle_v3INS_28GridwiseGemm_xdl_cshuffle_v3INS_13tensor_layout4gemm8RowMajorENS3_11ColumnMajorES4_fffffNS_16tensor_operation12element_wise11PassThroughES8_S8_LNS6_6device18GemmSpecializationE0ELi128ELi64ELi64ELi64ELi4ELi4ELi16ELi16ELi2ELi2ENS_8SequenceIJLi4ELi32ELi1EEEENSB_IJLi1ELi0ELi2EEEESD_Li2ELi2ELi2ELb0ELi0ESC_SD_SD_Li2ELi2ELi2ELb0ELi0ELi1ELi2ENSB_IJLi1ELi32ELi1ELi4EEEELi2ELNS_26BlockGemmPipelineSchedulerE0ELNS_24BlockGemmPipelineVersionE2EffLb0ELb0ELb0ELi0ELb0EEELb1ELNS_25InMemoryDataOperationEnumE0ELi2ELNS_10TailNumberE10EEEvNT_8ArgumentE.private_seg_size, 0
	.set _ZN2ck27kernel_gemm_xdl_cshuffle_v3INS_28GridwiseGemm_xdl_cshuffle_v3INS_13tensor_layout4gemm8RowMajorENS3_11ColumnMajorES4_fffffNS_16tensor_operation12element_wise11PassThroughES8_S8_LNS6_6device18GemmSpecializationE0ELi128ELi64ELi64ELi64ELi4ELi4ELi16ELi16ELi2ELi2ENS_8SequenceIJLi4ELi32ELi1EEEENSB_IJLi1ELi0ELi2EEEESD_Li2ELi2ELi2ELb0ELi0ESC_SD_SD_Li2ELi2ELi2ELb0ELi0ELi1ELi2ENSB_IJLi1ELi32ELi1ELi4EEEELi2ELNS_26BlockGemmPipelineSchedulerE0ELNS_24BlockGemmPipelineVersionE2EffLb0ELb0ELb0ELi0ELb0EEELb1ELNS_25InMemoryDataOperationEnumE0ELi2ELNS_10TailNumberE10EEEvNT_8ArgumentE.uses_vcc, 0
	.set _ZN2ck27kernel_gemm_xdl_cshuffle_v3INS_28GridwiseGemm_xdl_cshuffle_v3INS_13tensor_layout4gemm8RowMajorENS3_11ColumnMajorES4_fffffNS_16tensor_operation12element_wise11PassThroughES8_S8_LNS6_6device18GemmSpecializationE0ELi128ELi64ELi64ELi64ELi4ELi4ELi16ELi16ELi2ELi2ENS_8SequenceIJLi4ELi32ELi1EEEENSB_IJLi1ELi0ELi2EEEESD_Li2ELi2ELi2ELb0ELi0ESC_SD_SD_Li2ELi2ELi2ELb0ELi0ELi1ELi2ENSB_IJLi1ELi32ELi1ELi4EEEELi2ELNS_26BlockGemmPipelineSchedulerE0ELNS_24BlockGemmPipelineVersionE2EffLb0ELb0ELb0ELi0ELb0EEELb1ELNS_25InMemoryDataOperationEnumE0ELi2ELNS_10TailNumberE10EEEvNT_8ArgumentE.uses_flat_scratch, 0
	.set _ZN2ck27kernel_gemm_xdl_cshuffle_v3INS_28GridwiseGemm_xdl_cshuffle_v3INS_13tensor_layout4gemm8RowMajorENS3_11ColumnMajorES4_fffffNS_16tensor_operation12element_wise11PassThroughES8_S8_LNS6_6device18GemmSpecializationE0ELi128ELi64ELi64ELi64ELi4ELi4ELi16ELi16ELi2ELi2ENS_8SequenceIJLi4ELi32ELi1EEEENSB_IJLi1ELi0ELi2EEEESD_Li2ELi2ELi2ELb0ELi0ESC_SD_SD_Li2ELi2ELi2ELb0ELi0ELi1ELi2ENSB_IJLi1ELi32ELi1ELi4EEEELi2ELNS_26BlockGemmPipelineSchedulerE0ELNS_24BlockGemmPipelineVersionE2EffLb0ELb0ELb0ELi0ELb0EEELb1ELNS_25InMemoryDataOperationEnumE0ELi2ELNS_10TailNumberE10EEEvNT_8ArgumentE.has_dyn_sized_stack, 0
	.set _ZN2ck27kernel_gemm_xdl_cshuffle_v3INS_28GridwiseGemm_xdl_cshuffle_v3INS_13tensor_layout4gemm8RowMajorENS3_11ColumnMajorES4_fffffNS_16tensor_operation12element_wise11PassThroughES8_S8_LNS6_6device18GemmSpecializationE0ELi128ELi64ELi64ELi64ELi4ELi4ELi16ELi16ELi2ELi2ENS_8SequenceIJLi4ELi32ELi1EEEENSB_IJLi1ELi0ELi2EEEESD_Li2ELi2ELi2ELb0ELi0ESC_SD_SD_Li2ELi2ELi2ELb0ELi0ELi1ELi2ENSB_IJLi1ELi32ELi1ELi4EEEELi2ELNS_26BlockGemmPipelineSchedulerE0ELNS_24BlockGemmPipelineVersionE2EffLb0ELb0ELb0ELi0ELb0EEELb1ELNS_25InMemoryDataOperationEnumE0ELi2ELNS_10TailNumberE10EEEvNT_8ArgumentE.has_recursion, 0
	.set _ZN2ck27kernel_gemm_xdl_cshuffle_v3INS_28GridwiseGemm_xdl_cshuffle_v3INS_13tensor_layout4gemm8RowMajorENS3_11ColumnMajorES4_fffffNS_16tensor_operation12element_wise11PassThroughES8_S8_LNS6_6device18GemmSpecializationE0ELi128ELi64ELi64ELi64ELi4ELi4ELi16ELi16ELi2ELi2ENS_8SequenceIJLi4ELi32ELi1EEEENSB_IJLi1ELi0ELi2EEEESD_Li2ELi2ELi2ELb0ELi0ESC_SD_SD_Li2ELi2ELi2ELb0ELi0ELi1ELi2ENSB_IJLi1ELi32ELi1ELi4EEEELi2ELNS_26BlockGemmPipelineSchedulerE0ELNS_24BlockGemmPipelineVersionE2EffLb0ELb0ELb0ELi0ELb0EEELb1ELNS_25InMemoryDataOperationEnumE0ELi2ELNS_10TailNumberE10EEEvNT_8ArgumentE.has_indirect_call, 0
	.section	.AMDGPU.csdata,"",@progbits
; Kernel info:
; codeLenInByte = 4
; TotalNumSgprs: 6
; NumVgprs: 0
; NumAgprs: 0
; TotalNumVgprs: 0
; ScratchSize: 0
; MemoryBound: 0
; FloatMode: 240
; IeeeMode: 1
; LDSByteSize: 0 bytes/workgroup (compile time only)
; SGPRBlocks: 0
; VGPRBlocks: 0
; NumSGPRsForWavesPerEU: 6
; NumVGPRsForWavesPerEU: 1
; AccumOffset: 4
; Occupancy: 8
; WaveLimiterHint : 0
; COMPUTE_PGM_RSRC2:SCRATCH_EN: 0
; COMPUTE_PGM_RSRC2:USER_SGPR: 2
; COMPUTE_PGM_RSRC2:TRAP_HANDLER: 0
; COMPUTE_PGM_RSRC2:TGID_X_EN: 1
; COMPUTE_PGM_RSRC2:TGID_Y_EN: 0
; COMPUTE_PGM_RSRC2:TGID_Z_EN: 0
; COMPUTE_PGM_RSRC2:TIDIG_COMP_CNT: 0
; COMPUTE_PGM_RSRC3_GFX90A:ACCUM_OFFSET: 0
; COMPUTE_PGM_RSRC3_GFX90A:TG_SPLIT: 0
	.section	.AMDGPU.gpr_maximums,"",@progbits
	.set amdgpu.max_num_vgpr, 0
	.set amdgpu.max_num_agpr, 0
	.set amdgpu.max_num_sgpr, 0
	.section	.AMDGPU.csdata,"",@progbits
	.type	__hip_cuid_c207b29166cc585a,@object ; @__hip_cuid_c207b29166cc585a
	.section	.bss,"aw",@nobits
	.globl	__hip_cuid_c207b29166cc585a
__hip_cuid_c207b29166cc585a:
	.byte	0                               ; 0x0
	.size	__hip_cuid_c207b29166cc585a, 1

	.ident	"AMD clang version 22.0.0git (https://github.com/RadeonOpenCompute/llvm-project roc-7.2.4 26084 f58b06dce1f9c15707c5f808fd002e18c2accf7e)"
	.section	".note.GNU-stack","",@progbits
	.addrsig
	.addrsig_sym __hip_cuid_c207b29166cc585a
	.amdgpu_metadata
---
amdhsa.kernels:
  - .agpr_count:     0
    .args:           []
    .group_segment_fixed_size: 0
    .kernarg_segment_align: 4
    .kernarg_segment_size: 0
    .language:       OpenCL C
    .language_version:
      - 2
      - 0
    .max_flat_workgroup_size: 1024
    .name:           _ZN2ckL12flush_icacheEv
    .private_segment_fixed_size: 0
    .sgpr_count:     6
    .sgpr_spill_count: 0
    .symbol:         _ZN2ckL12flush_icacheEv.kd
    .uniform_work_group_size: 1
    .uses_dynamic_stack: false
    .vgpr_count:     0
    .vgpr_spill_count: 0
    .wavefront_size: 64
  - .agpr_count:     0
    .args:
      - .offset:         0
        .size:           112
        .value_kind:     by_value
    .group_segment_fixed_size: 32768
    .kernarg_segment_align: 8
    .kernarg_segment_size: 112
    .language:       OpenCL C
    .language_version:
      - 2
      - 0
    .max_flat_workgroup_size: 128
    .name:           _ZN2ck27kernel_gemm_xdl_cshuffle_v3INS_28GridwiseGemm_xdl_cshuffle_v3INS_13tensor_layout4gemm8RowMajorENS3_11ColumnMajorES4_fffffNS_16tensor_operation12element_wise11PassThroughES8_S8_LNS6_6device18GemmSpecializationE0ELi128ELi64ELi64ELi64ELi4ELi4ELi16ELi16ELi2ELi4ENS_8SequenceIJLi4ELi32ELi1EEEENSB_IJLi1ELi0ELi2EEEESD_Li2ELi2ELi2ELb0ELi0ESC_SD_SD_Li2ELi2ELi2ELb0ELi0ELi1ELi2ENSB_IJLi1ELi32ELi1ELi4EEEELi2ELNS_26BlockGemmPipelineSchedulerE0ELNS_24BlockGemmPipelineVersionE2EffLb0ELb0ELb0ELi0ELb0EEELb1ELNS_25InMemoryDataOperationEnumE1ELi2ELNS_10TailNumberE10EEEvNT_8ArgumentE
    .private_segment_fixed_size: 0
    .sgpr_count:     35
    .sgpr_spill_count: 0
    .symbol:         _ZN2ck27kernel_gemm_xdl_cshuffle_v3INS_28GridwiseGemm_xdl_cshuffle_v3INS_13tensor_layout4gemm8RowMajorENS3_11ColumnMajorES4_fffffNS_16tensor_operation12element_wise11PassThroughES8_S8_LNS6_6device18GemmSpecializationE0ELi128ELi64ELi64ELi64ELi4ELi4ELi16ELi16ELi2ELi4ENS_8SequenceIJLi4ELi32ELi1EEEENSB_IJLi1ELi0ELi2EEEESD_Li2ELi2ELi2ELb0ELi0ESC_SD_SD_Li2ELi2ELi2ELb0ELi0ELi1ELi2ENSB_IJLi1ELi32ELi1ELi4EEEELi2ELNS_26BlockGemmPipelineSchedulerE0ELNS_24BlockGemmPipelineVersionE2EffLb0ELb0ELb0ELi0ELb0EEELb1ELNS_25InMemoryDataOperationEnumE1ELi2ELNS_10TailNumberE10EEEvNT_8ArgumentE.kd
    .uniform_work_group_size: 1
    .uses_dynamic_stack: false
    .vgpr_count:     235
    .vgpr_spill_count: 0
    .wavefront_size: 64
  - .agpr_count:     0
    .args:
      - .offset:         0
        .size:           112
        .value_kind:     by_value
    .group_segment_fixed_size: 32768
    .kernarg_segment_align: 8
    .kernarg_segment_size: 112
    .language:       OpenCL C
    .language_version:
      - 2
      - 0
    .max_flat_workgroup_size: 128
    .name:           _ZN2ck27kernel_gemm_xdl_cshuffle_v3INS_28GridwiseGemm_xdl_cshuffle_v3INS_13tensor_layout4gemm8RowMajorENS3_11ColumnMajorES4_fffffNS_16tensor_operation12element_wise11PassThroughES8_S8_LNS6_6device18GemmSpecializationE0ELi128ELi64ELi64ELi64ELi4ELi4ELi16ELi16ELi2ELi4ENS_8SequenceIJLi4ELi32ELi1EEEENSB_IJLi1ELi0ELi2EEEESD_Li2ELi2ELi2ELb0ELi0ESC_SD_SD_Li2ELi2ELi2ELb0ELi0ELi1ELi2ENSB_IJLi1ELi32ELi1ELi4EEEELi2ELNS_26BlockGemmPipelineSchedulerE0ELNS_24BlockGemmPipelineVersionE2EffLb0ELb0ELb0ELi0ELb0EEELb1ELNS_25InMemoryDataOperationEnumE0ELi2ELNS_10TailNumberE10EEEvNT_8ArgumentE
    .private_segment_fixed_size: 0
    .sgpr_count:     35
    .sgpr_spill_count: 0
    .symbol:         _ZN2ck27kernel_gemm_xdl_cshuffle_v3INS_28GridwiseGemm_xdl_cshuffle_v3INS_13tensor_layout4gemm8RowMajorENS3_11ColumnMajorES4_fffffNS_16tensor_operation12element_wise11PassThroughES8_S8_LNS6_6device18GemmSpecializationE0ELi128ELi64ELi64ELi64ELi4ELi4ELi16ELi16ELi2ELi4ENS_8SequenceIJLi4ELi32ELi1EEEENSB_IJLi1ELi0ELi2EEEESD_Li2ELi2ELi2ELb0ELi0ESC_SD_SD_Li2ELi2ELi2ELb0ELi0ELi1ELi2ENSB_IJLi1ELi32ELi1ELi4EEEELi2ELNS_26BlockGemmPipelineSchedulerE0ELNS_24BlockGemmPipelineVersionE2EffLb0ELb0ELb0ELi0ELb0EEELb1ELNS_25InMemoryDataOperationEnumE0ELi2ELNS_10TailNumberE10EEEvNT_8ArgumentE.kd
    .uniform_work_group_size: 1
    .uses_dynamic_stack: false
    .vgpr_count:     235
    .vgpr_spill_count: 0
    .wavefront_size: 64
  - .agpr_count:     0
    .args:
      - .offset:         0
        .size:           112
        .value_kind:     by_value
    .group_segment_fixed_size: 0
    .kernarg_segment_align: 8
    .kernarg_segment_size: 112
    .language:       OpenCL C
    .language_version:
      - 2
      - 0
    .max_flat_workgroup_size: 128
    .name:           _ZN2ck27kernel_gemm_xdl_cshuffle_v3INS_28GridwiseGemm_xdl_cshuffle_v3INS_13tensor_layout4gemm8RowMajorENS3_11ColumnMajorES4_fffffNS_16tensor_operation12element_wise11PassThroughES8_S8_LNS6_6device18GemmSpecializationE0ELi128ELi64ELi64ELi64ELi4ELi4ELi16ELi16ELi2ELi2ENS_8SequenceIJLi4ELi32ELi1EEEENSB_IJLi1ELi0ELi2EEEESD_Li2ELi2ELi2ELb0ELi0ESC_SD_SD_Li2ELi2ELi2ELb0ELi0ELi1ELi2ENSB_IJLi1ELi32ELi1ELi4EEEELi2ELNS_26BlockGemmPipelineSchedulerE0ELNS_24BlockGemmPipelineVersionE2EffLb0ELb0ELb0ELi0ELb0EEELb1ELNS_25InMemoryDataOperationEnumE1ELi2ELNS_10TailNumberE10EEEvNT_8ArgumentE
    .private_segment_fixed_size: 0
    .sgpr_count:     6
    .sgpr_spill_count: 0
    .symbol:         _ZN2ck27kernel_gemm_xdl_cshuffle_v3INS_28GridwiseGemm_xdl_cshuffle_v3INS_13tensor_layout4gemm8RowMajorENS3_11ColumnMajorES4_fffffNS_16tensor_operation12element_wise11PassThroughES8_S8_LNS6_6device18GemmSpecializationE0ELi128ELi64ELi64ELi64ELi4ELi4ELi16ELi16ELi2ELi2ENS_8SequenceIJLi4ELi32ELi1EEEENSB_IJLi1ELi0ELi2EEEESD_Li2ELi2ELi2ELb0ELi0ESC_SD_SD_Li2ELi2ELi2ELb0ELi0ELi1ELi2ENSB_IJLi1ELi32ELi1ELi4EEEELi2ELNS_26BlockGemmPipelineSchedulerE0ELNS_24BlockGemmPipelineVersionE2EffLb0ELb0ELb0ELi0ELb0EEELb1ELNS_25InMemoryDataOperationEnumE1ELi2ELNS_10TailNumberE10EEEvNT_8ArgumentE.kd
    .uniform_work_group_size: 1
    .uses_dynamic_stack: false
    .vgpr_count:     0
    .vgpr_spill_count: 0
    .wavefront_size: 64
  - .agpr_count:     0
    .args:
      - .offset:         0
        .size:           112
        .value_kind:     by_value
    .group_segment_fixed_size: 0
    .kernarg_segment_align: 8
    .kernarg_segment_size: 112
    .language:       OpenCL C
    .language_version:
      - 2
      - 0
    .max_flat_workgroup_size: 128
    .name:           _ZN2ck27kernel_gemm_xdl_cshuffle_v3INS_28GridwiseGemm_xdl_cshuffle_v3INS_13tensor_layout4gemm8RowMajorENS3_11ColumnMajorES4_fffffNS_16tensor_operation12element_wise11PassThroughES8_S8_LNS6_6device18GemmSpecializationE0ELi128ELi64ELi64ELi64ELi4ELi4ELi16ELi16ELi2ELi2ENS_8SequenceIJLi4ELi32ELi1EEEENSB_IJLi1ELi0ELi2EEEESD_Li2ELi2ELi2ELb0ELi0ESC_SD_SD_Li2ELi2ELi2ELb0ELi0ELi1ELi2ENSB_IJLi1ELi32ELi1ELi4EEEELi2ELNS_26BlockGemmPipelineSchedulerE0ELNS_24BlockGemmPipelineVersionE2EffLb0ELb0ELb0ELi0ELb0EEELb1ELNS_25InMemoryDataOperationEnumE0ELi2ELNS_10TailNumberE10EEEvNT_8ArgumentE
    .private_segment_fixed_size: 0
    .sgpr_count:     6
    .sgpr_spill_count: 0
    .symbol:         _ZN2ck27kernel_gemm_xdl_cshuffle_v3INS_28GridwiseGemm_xdl_cshuffle_v3INS_13tensor_layout4gemm8RowMajorENS3_11ColumnMajorES4_fffffNS_16tensor_operation12element_wise11PassThroughES8_S8_LNS6_6device18GemmSpecializationE0ELi128ELi64ELi64ELi64ELi4ELi4ELi16ELi16ELi2ELi2ENS_8SequenceIJLi4ELi32ELi1EEEENSB_IJLi1ELi0ELi2EEEESD_Li2ELi2ELi2ELb0ELi0ESC_SD_SD_Li2ELi2ELi2ELb0ELi0ELi1ELi2ENSB_IJLi1ELi32ELi1ELi4EEEELi2ELNS_26BlockGemmPipelineSchedulerE0ELNS_24BlockGemmPipelineVersionE2EffLb0ELb0ELb0ELi0ELb0EEELb1ELNS_25InMemoryDataOperationEnumE0ELi2ELNS_10TailNumberE10EEEvNT_8ArgumentE.kd
    .uniform_work_group_size: 1
    .uses_dynamic_stack: false
    .vgpr_count:     0
    .vgpr_spill_count: 0
    .wavefront_size: 64
amdhsa.target:   amdgcn-amd-amdhsa--gfx950
amdhsa.version:
  - 1
  - 2
...

	.end_amdgpu_metadata
